;; amdgpu-corpus repo=ROCm/rocFFT kind=compiled arch=gfx1201 opt=O3
	.text
	.amdgcn_target "amdgcn-amd-amdhsa--gfx1201"
	.amdhsa_code_object_version 6
	.protected	bluestein_single_back_len1650_dim1_dp_op_CI_CI ; -- Begin function bluestein_single_back_len1650_dim1_dp_op_CI_CI
	.globl	bluestein_single_back_len1650_dim1_dp_op_CI_CI
	.p2align	8
	.type	bluestein_single_back_len1650_dim1_dp_op_CI_CI,@function
bluestein_single_back_len1650_dim1_dp_op_CI_CI: ; @bluestein_single_back_len1650_dim1_dp_op_CI_CI
; %bb.0:
	s_load_b128 s[12:15], s[0:1], 0x28
	v_mul_u32_u24_e32 v1, 0x254, v0
	s_mov_b32 s2, exec_lo
	v_mov_b32_e32 v5, 0
	s_delay_alu instid0(VALU_DEP_2) | instskip(NEXT) | instid1(VALU_DEP_1)
	v_lshrrev_b32_e32 v1, 16, v1
	v_add_nc_u32_e32 v4, ttmp9, v1
	s_wait_kmcnt 0x0
	s_delay_alu instid0(VALU_DEP_1)
	v_cmpx_gt_u64_e64 s[12:13], v[4:5]
	s_cbranch_execz .LBB0_23
; %bb.1:
	s_clause 0x1
	s_load_b128 s[4:7], s[0:1], 0x18
	s_load_b64 s[12:13], s[0:1], 0x0
	v_mul_lo_u16 v1, 0x6e, v1
	v_mov_b32_e32 v5, v4
	s_delay_alu instid0(VALU_DEP_2) | instskip(SKIP_2) | instid1(VALU_DEP_1)
	v_sub_nc_u16 v90, v0, v1
	scratch_store_b64 off, v[5:6], off offset:220 ; 8-byte Folded Spill
	v_and_b32_e32 v200, 0xffff, v90
	v_lshlrev_b32_e32 v96, 4, v200
	s_wait_kmcnt 0x0
	s_load_b128 s[8:11], s[4:5], 0x0
	s_clause 0x7
	global_load_b128 v[91:94], v96, s[12:13]
	global_load_b128 v[97:100], v96, s[12:13] offset:2400
	global_load_b128 v[101:104], v96, s[12:13] offset:4800
	global_load_b128 v[105:108], v96, s[12:13] offset:7200
	global_load_b128 v[109:112], v96, s[12:13] offset:9600
	global_load_b128 v[113:116], v96, s[12:13] offset:12000
	global_load_b128 v[117:120], v96, s[12:13] offset:14400
	global_load_b128 v[121:124], v96, s[12:13] offset:16800
	s_wait_kmcnt 0x0
	v_mad_co_u64_u32 v[0:1], null, s10, v4, 0
	v_mad_co_u64_u32 v[2:3], null, s8, v200, 0
	s_mul_u64 s[2:3], s[8:9], 0x96
	s_delay_alu instid0(VALU_DEP_1) | instskip(NEXT) | instid1(VALU_DEP_1)
	v_mad_co_u64_u32 v[4:5], null, s11, v4, v[1:2]
	v_mad_co_u64_u32 v[5:6], null, s9, v200, v[3:4]
	v_mov_b32_e32 v1, v4
	s_delay_alu instid0(VALU_DEP_1) | instskip(NEXT) | instid1(VALU_DEP_3)
	v_lshlrev_b64_e32 v[0:1], 4, v[0:1]
	v_mov_b32_e32 v3, v5
	s_delay_alu instid0(VALU_DEP_2) | instskip(NEXT) | instid1(VALU_DEP_2)
	v_add_co_u32 v0, vcc_lo, s14, v0
	v_lshlrev_b64_e32 v[2:3], 4, v[2:3]
	s_delay_alu instid0(VALU_DEP_4) | instskip(SKIP_1) | instid1(VALU_DEP_2)
	v_add_co_ci_u32_e32 v1, vcc_lo, s15, v1, vcc_lo
	s_lshl_b64 s[14:15], s[2:3], 4
	v_add_co_u32 v0, vcc_lo, v0, v2
	s_wait_alu 0xfffd
	s_delay_alu instid0(VALU_DEP_2) | instskip(SKIP_1) | instid1(VALU_DEP_2)
	v_add_co_ci_u32_e32 v1, vcc_lo, v1, v3, vcc_lo
	s_wait_alu 0xfffe
	v_add_co_u32 v6, vcc_lo, v0, s14
	s_wait_alu 0xfffd
	s_delay_alu instid0(VALU_DEP_2) | instskip(NEXT) | instid1(VALU_DEP_2)
	v_add_co_ci_u32_e32 v7, vcc_lo, s15, v1, vcc_lo
	v_add_co_u32 v10, vcc_lo, v6, s14
	s_wait_alu 0xfffd
	s_delay_alu instid0(VALU_DEP_2)
	v_add_co_ci_u32_e32 v11, vcc_lo, s15, v7, vcc_lo
	s_clause 0x1
	global_load_b128 v[2:5], v[0:1], off
	global_load_b128 v[6:9], v[6:7], off
	v_add_co_u32 v14, vcc_lo, v10, s14
	s_wait_alu 0xfffd
	v_add_co_ci_u32_e32 v15, vcc_lo, s15, v11, vcc_lo
	s_delay_alu instid0(VALU_DEP_2) | instskip(SKIP_1) | instid1(VALU_DEP_2)
	v_add_co_u32 v0, vcc_lo, v14, s14
	s_wait_alu 0xfffd
	v_add_co_ci_u32_e32 v1, vcc_lo, s15, v15, vcc_lo
	s_clause 0x1
	global_load_b128 v[10:13], v[10:11], off
	global_load_b128 v[14:17], v[14:15], off
	v_add_co_u32 v22, vcc_lo, v0, s14
	s_wait_alu 0xfffd
	v_add_co_ci_u32_e32 v23, vcc_lo, s15, v1, vcc_lo
	global_load_b128 v[18:21], v[0:1], off
	v_add_co_u32 v0, vcc_lo, v22, s14
	s_wait_alu 0xfffd
	v_add_co_ci_u32_e32 v1, vcc_lo, s15, v23, vcc_lo
	;; [unrolled: 4-line block ×6, first 2 shown]
	s_clause 0x1
	global_load_b128 v[129:132], v96, s[12:13] offset:19200
	global_load_b128 v[125:128], v96, s[12:13] offset:21600
	global_load_b128 v[38:41], v[38:39], off
	global_load_b128 v[133:136], v96, s[12:13] offset:24000
	global_load_b128 v[42:45], v[0:1], off
	v_cmp_gt_u16_e32 vcc_lo, 40, v90
	s_wait_loadcnt 0x15
	scratch_store_b128 off, v[91:94], off offset:104 ; 16-byte Folded Spill
	s_wait_loadcnt 0x14
	scratch_store_b128 off, v[97:100], off offset:120 ; 16-byte Folded Spill
	;; [unrolled: 2-line block ×8, first 2 shown]
	s_wait_loadcnt 0xd
	v_mul_f64_e32 v[46:47], v[4:5], v[93:94]
	v_mul_f64_e32 v[48:49], v[2:3], v[93:94]
	s_wait_loadcnt 0xc
	v_mul_f64_e32 v[50:51], v[8:9], v[99:100]
	v_mul_f64_e32 v[52:53], v[6:7], v[99:100]
	s_wait_loadcnt 0xb
	v_mul_f64_e32 v[54:55], v[12:13], v[103:104]
	v_mul_f64_e32 v[56:57], v[10:11], v[103:104]
	s_wait_loadcnt 0xa
	v_mul_f64_e32 v[58:59], v[16:17], v[107:108]
	v_mul_f64_e32 v[60:61], v[14:15], v[107:108]
	s_wait_loadcnt 0x9
	v_mul_f64_e32 v[62:63], v[20:21], v[111:112]
	v_mul_f64_e32 v[64:65], v[18:19], v[111:112]
	s_wait_loadcnt 0x8
	v_mul_f64_e32 v[66:67], v[24:25], v[115:116]
	v_mul_f64_e32 v[68:69], v[22:23], v[115:116]
	s_wait_loadcnt 0x7
	v_mul_f64_e32 v[70:71], v[28:29], v[119:120]
	v_mul_f64_e32 v[72:73], v[26:27], v[119:120]
	s_wait_loadcnt 0x6
	v_mul_f64_e32 v[74:75], v[32:33], v[123:124]
	v_mul_f64_e32 v[76:77], v[30:31], v[123:124]
	s_wait_loadcnt 0x4
	v_mul_f64_e32 v[78:79], v[36:37], v[131:132]
	v_mul_f64_e32 v[80:81], v[34:35], v[131:132]
	s_wait_loadcnt 0x2
	v_mul_f64_e32 v[82:83], v[40:41], v[127:128]
	v_mul_f64_e32 v[84:85], v[38:39], v[127:128]
	s_wait_loadcnt 0x0
	v_mul_f64_e32 v[86:87], v[44:45], v[135:136]
	v_mul_f64_e32 v[88:89], v[42:43], v[135:136]
	v_fma_f64 v[2:3], v[2:3], v[91:92], v[46:47]
	v_fma_f64 v[4:5], v[4:5], v[91:92], -v[48:49]
	v_fma_f64 v[6:7], v[6:7], v[97:98], v[50:51]
	v_fma_f64 v[8:9], v[8:9], v[97:98], -v[52:53]
	s_clause 0x1
	scratch_store_b128 off, v[129:132], off offset:260
	scratch_store_b128 off, v[125:128], off offset:244
	v_fma_f64 v[10:11], v[10:11], v[101:102], v[54:55]
	v_fma_f64 v[12:13], v[12:13], v[101:102], -v[56:57]
	v_fma_f64 v[14:15], v[14:15], v[105:106], v[58:59]
	v_fma_f64 v[16:17], v[16:17], v[105:106], -v[60:61]
	scratch_store_b128 off, v[133:136], off offset:276 ; 16-byte Folded Spill
	v_fma_f64 v[18:19], v[18:19], v[109:110], v[62:63]
	v_fma_f64 v[20:21], v[20:21], v[109:110], -v[64:65]
	s_load_b64 s[10:11], s[0:1], 0x38
	s_load_b128 s[4:7], s[6:7], 0x0
	v_add_co_u32 v46, s2, s12, v96
	v_fma_f64 v[22:23], v[22:23], v[113:114], v[66:67]
	v_fma_f64 v[24:25], v[24:25], v[113:114], -v[68:69]
	v_add_co_ci_u32_e64 v47, null, s13, 0, s2
	v_fma_f64 v[26:27], v[26:27], v[117:118], v[70:71]
	v_fma_f64 v[28:29], v[28:29], v[117:118], -v[72:73]
	scratch_store_b64 off, v[46:47], off    ; 8-byte Folded Spill
	ds_store_b128 v96, v[2:5]
	ds_store_b128 v96, v[6:9] offset:2400
	ds_store_b128 v96, v[10:13] offset:4800
	;; [unrolled: 1-line block ×5, first 2 shown]
	v_fma_f64 v[30:31], v[30:31], v[121:122], v[74:75]
	v_fma_f64 v[32:33], v[32:33], v[121:122], -v[76:77]
	v_fma_f64 v[34:35], v[34:35], v[129:130], v[78:79]
	v_fma_f64 v[36:37], v[36:37], v[129:130], -v[80:81]
	;; [unrolled: 2-line block ×4, first 2 shown]
	ds_store_b128 v96, v[26:29] offset:14400
	ds_store_b128 v96, v[30:33] offset:16800
	;; [unrolled: 1-line block ×5, first 2 shown]
	s_and_saveexec_b32 s3, vcc_lo
	s_cbranch_execz .LBB0_3
; %bb.2:
	scratch_load_b64 v[80:81], off, off     ; 8-byte Folded Reload
	v_mad_co_u64_u32 v[24:25], null, 0xffffa920, s8, v[0:1]
	s_mul_i32 s2, s9, 0xffffa920
	s_wait_loadcnt 0x0
	s_clause 0x1
	global_load_b128 v[0:3], v[80:81], off offset:1760
	global_load_b128 v[4:7], v[80:81], off offset:4160
	s_wait_alu 0xfffe
	s_sub_co_i32 s2, s2, s8
	s_clause 0x1
	global_load_b128 v[8:11], v[80:81], off offset:6560
	global_load_b128 v[12:15], v[80:81], off offset:8960
	s_wait_alu 0xfffe
	v_add_nc_u32_e32 v25, s2, v25
	v_add_co_u32 v28, s2, v24, s14
	s_clause 0x1
	global_load_b128 v[16:19], v[80:81], off offset:11360
	global_load_b128 v[20:23], v[80:81], off offset:13760
	s_wait_alu 0xf1ff
	v_add_co_ci_u32_e64 v29, s2, s15, v25, s2
	v_add_co_u32 v32, s2, v28, s14
	global_load_b128 v[24:27], v[24:25], off
	s_wait_alu 0xf1ff
	v_add_co_ci_u32_e64 v33, s2, s15, v29, s2
	v_add_co_u32 v36, s2, v32, s14
	global_load_b128 v[28:31], v[28:29], off
	;; [unrolled: 4-line block ×3, first 2 shown]
	s_wait_alu 0xf1ff
	v_add_co_ci_u32_e64 v41, s2, s15, v37, s2
	v_add_co_u32 v44, s2, v40, s14
	s_wait_alu 0xf1ff
	s_delay_alu instid0(VALU_DEP_2) | instskip(NEXT) | instid1(VALU_DEP_2)
	v_add_co_ci_u32_e64 v45, s2, s15, v41, s2
	v_add_co_u32 v48, s2, v44, s14
	s_wait_alu 0xf1ff
	s_delay_alu instid0(VALU_DEP_2) | instskip(NEXT) | instid1(VALU_DEP_2)
	;; [unrolled: 4-line block ×3, first 2 shown]
	v_add_co_ci_u32_e64 v57, s2, s15, v49, s2
	v_add_co_u32 v64, s2, v56, s14
	global_load_b128 v[36:39], v[36:37], off
	global_load_b128 v[40:43], v[40:41], off
	global_load_b128 v[44:47], v[44:45], off
	global_load_b128 v[48:51], v[48:49], off
	global_load_b128 v[52:55], v[56:57], off
	s_wait_alu 0xf1ff
	v_add_co_ci_u32_e64 v65, s2, s15, v57, s2
	v_add_co_u32 v72, s2, v64, s14
	s_clause 0x1
	global_load_b128 v[56:59], v[80:81], off offset:16160
	global_load_b128 v[60:63], v[80:81], off offset:18560
	s_wait_alu 0xf1ff
	v_add_co_ci_u32_e64 v73, s2, s15, v65, s2
	v_add_co_u32 v84, s2, v72, s14
	global_load_b128 v[64:67], v[64:65], off
	s_wait_alu 0xf1ff
	v_add_co_ci_u32_e64 v85, s2, s15, v73, s2
	global_load_b128 v[68:71], v[80:81], off offset:20960
	global_load_b128 v[72:75], v[72:73], off
	s_clause 0x1
	global_load_b128 v[76:79], v[80:81], off offset:23360
	global_load_b128 v[80:83], v[80:81], off offset:25760
	global_load_b128 v[84:87], v[84:85], off
	s_wait_loadcnt 0xf
	v_mul_f64_e32 v[88:89], v[26:27], v[2:3]
	v_mul_f64_e32 v[2:3], v[24:25], v[2:3]
	s_wait_loadcnt 0xe
	v_mul_f64_e32 v[90:91], v[30:31], v[6:7]
	v_mul_f64_e32 v[6:7], v[28:29], v[6:7]
	;; [unrolled: 3-line block ×8, first 2 shown]
	v_fma_f64 v[22:23], v[24:25], v[0:1], v[88:89]
	v_fma_f64 v[24:25], v[26:27], v[0:1], -v[2:3]
	s_wait_loadcnt 0x4
	v_mul_f64_e32 v[108:109], v[66:67], v[70:71]
	v_mul_f64_e32 v[70:71], v[64:65], v[70:71]
	s_wait_loadcnt 0x2
	v_mul_f64_e32 v[110:111], v[74:75], v[78:79]
	v_mul_f64_e32 v[78:79], v[72:73], v[78:79]
	;; [unrolled: 3-line block ×3, first 2 shown]
	v_fma_f64 v[0:1], v[28:29], v[4:5], v[90:91]
	v_fma_f64 v[2:3], v[30:31], v[4:5], -v[6:7]
	v_fma_f64 v[4:5], v[32:33], v[8:9], v[92:93]
	v_fma_f64 v[6:7], v[34:35], v[8:9], -v[10:11]
	v_fma_f64 v[8:9], v[36:37], v[12:13], v[94:95]
	v_fma_f64 v[10:11], v[38:39], v[12:13], -v[14:15]
	v_fma_f64 v[12:13], v[40:41], v[16:17], v[98:99]
	v_fma_f64 v[14:15], v[42:43], v[16:17], -v[18:19]
	v_fma_f64 v[16:17], v[44:45], v[20:21], v[100:101]
	v_fma_f64 v[18:19], v[46:47], v[20:21], -v[102:103]
	v_fma_f64 v[26:27], v[48:49], v[56:57], v[104:105]
	v_fma_f64 v[28:29], v[50:51], v[56:57], -v[58:59]
	v_fma_f64 v[30:31], v[52:53], v[60:61], v[106:107]
	v_fma_f64 v[32:33], v[54:55], v[60:61], -v[62:63]
	v_fma_f64 v[34:35], v[64:65], v[68:69], v[108:109]
	v_fma_f64 v[36:37], v[66:67], v[68:69], -v[70:71]
	v_fma_f64 v[38:39], v[72:73], v[76:77], v[110:111]
	v_fma_f64 v[40:41], v[74:75], v[76:77], -v[78:79]
	v_fma_f64 v[42:43], v[84:85], v[80:81], v[112:113]
	v_fma_f64 v[44:45], v[86:87], v[80:81], -v[82:83]
	ds_store_b128 v96, v[22:25] offset:1760
	ds_store_b128 v96, v[0:3] offset:4160
	;; [unrolled: 1-line block ×11, first 2 shown]
.LBB0_3:
	s_wait_alu 0xfffe
	s_or_b32 exec_lo, exec_lo, s3
	global_wb scope:SCOPE_SE
	s_wait_storecnt_dscnt 0x0
	s_wait_kmcnt 0x0
	s_barrier_signal -1
	s_barrier_wait -1
	global_inv scope:SCOPE_SE
	ds_load_b128 v[0:3], v96
	ds_load_b128 v[44:47], v96 offset:2400
	ds_load_b128 v[8:11], v96 offset:4800
	;; [unrolled: 1-line block ×10, first 2 shown]
                                        ; implicit-def: $vgpr56_vgpr57
                                        ; implicit-def: $vgpr64_vgpr65
                                        ; implicit-def: $vgpr68_vgpr69
                                        ; implicit-def: $vgpr72_vgpr73
                                        ; implicit-def: $vgpr76_vgpr77
                                        ; implicit-def: $vgpr100_vgpr101
                                        ; implicit-def: $vgpr88_vgpr89
                                        ; implicit-def: $vgpr84_vgpr85
                                        ; implicit-def: $vgpr80_vgpr81
                                        ; implicit-def: $vgpr104_vgpr105
                                        ; implicit-def: $vgpr108_vgpr109
	s_and_saveexec_b32 s2, vcc_lo
	s_cbranch_execz .LBB0_5
; %bb.4:
	ds_load_b128 v[56:59], v96 offset:1760
	ds_load_b128 v[64:67], v96 offset:4160
	ds_load_b128 v[68:71], v96 offset:6560
	ds_load_b128 v[72:75], v96 offset:8960
	ds_load_b128 v[76:79], v96 offset:11360
	ds_load_b128 v[100:103], v96 offset:13760
	ds_load_b128 v[88:91], v96 offset:16160
	ds_load_b128 v[84:87], v96 offset:18560
	ds_load_b128 v[80:83], v96 offset:20960
	ds_load_b128 v[104:107], v96 offset:23360
	ds_load_b128 v[108:111], v96 offset:25760
.LBB0_5:
	s_wait_alu 0xfffe
	s_or_b32 exec_lo, exec_lo, s2
	s_wait_dscnt 0x9
	v_add_f64_e32 v[36:37], v[0:1], v[44:45]
	v_add_f64_e32 v[38:39], v[2:3], v[46:47]
	s_wait_dscnt 0x1
	v_add_f64_e64 v[52:53], v[8:9], -v[48:49]
	v_add_f64_e64 v[54:55], v[10:11], -v[50:51]
	s_mov_b32 s26, 0xf8bb580b
	s_mov_b32 s28, 0x8eee2c13
	;; [unrolled: 1-line block ×23, first 2 shown]
	s_wait_alu 0xfffe
	s_mov_b32 s36, s2
	s_mov_b32 s31, 0x3fe14ced
	;; [unrolled: 1-line block ×5, first 2 shown]
	v_add_f64_e64 v[164:165], v[68:69], -v[104:105]
	v_add_f64_e64 v[166:167], v[74:75], -v[82:83]
	;; [unrolled: 1-line block ×6, first 2 shown]
	v_add_f64_e32 v[36:37], v[36:37], v[8:9]
	v_add_f64_e32 v[38:39], v[38:39], v[10:11]
	v_add_f64_e64 v[176:177], v[100:101], -v[88:89]
	v_mul_f64_e32 v[180:181], s[38:39], v[164:165]
	s_delay_alu instid0(VALU_DEP_4) | instskip(NEXT) | instid1(VALU_DEP_4)
	v_add_f64_e32 v[36:37], v[36:37], v[16:17]
	v_add_f64_e32 v[38:39], v[38:39], v[18:19]
	s_delay_alu instid0(VALU_DEP_2) | instskip(NEXT) | instid1(VALU_DEP_2)
	v_add_f64_e32 v[36:37], v[36:37], v[24:25]
	v_add_f64_e32 v[38:39], v[38:39], v[26:27]
	s_delay_alu instid0(VALU_DEP_2) | instskip(NEXT) | instid1(VALU_DEP_2)
	v_add_f64_e32 v[40:41], v[36:37], v[32:33]
	v_add_f64_e32 v[42:43], v[38:39], v[34:35]
	v_add_f64_e32 v[36:37], v[32:33], v[28:29]
	v_add_f64_e32 v[38:39], v[34:35], v[30:31]
	v_add_f64_e64 v[32:33], v[32:33], -v[28:29]
	v_add_f64_e64 v[34:35], v[34:35], -v[30:31]
	v_add_f64_e32 v[40:41], v[40:41], v[28:29]
	v_add_f64_e32 v[42:43], v[42:43], v[30:31]
	v_add_f64_e32 v[28:29], v[24:25], v[20:21]
	v_add_f64_e32 v[30:31], v[26:27], v[22:23]
	v_add_f64_e64 v[24:25], v[24:25], -v[20:21]
	v_add_f64_e64 v[26:27], v[26:27], -v[22:23]
	v_add_f64_e32 v[40:41], v[40:41], v[20:21]
	v_add_f64_e32 v[42:43], v[42:43], v[22:23]
	v_add_f64_e32 v[20:21], v[16:17], v[12:13]
	v_add_f64_e32 v[22:23], v[18:19], v[14:15]
	v_add_f64_e64 v[16:17], v[16:17], -v[12:13]
	v_add_f64_e64 v[18:19], v[18:19], -v[14:15]
	v_add_f64_e32 v[12:13], v[40:41], v[12:13]
	v_add_f64_e32 v[14:15], v[42:43], v[14:15]
	;; [unrolled: 1-line block ×4, first 2 shown]
	s_delay_alu instid0(VALU_DEP_4) | instskip(NEXT) | instid1(VALU_DEP_4)
	v_add_f64_e32 v[8:9], v[12:13], v[48:49]
	v_add_f64_e32 v[10:11], v[14:15], v[50:51]
	s_wait_dscnt 0x0
	v_add_f64_e64 v[12:13], v[46:47], -v[6:7]
	v_add_f64_e32 v[14:15], v[44:45], v[4:5]
	v_add_f64_e32 v[46:47], v[46:47], v[6:7]
	v_add_f64_e64 v[44:45], v[44:45], -v[4:5]
	v_add_f64_e32 v[8:9], v[8:9], v[4:5]
	v_add_f64_e32 v[10:11], v[10:11], v[6:7]
	v_mul_f64_e32 v[4:5], s[26:27], v[12:13]
	v_mul_f64_e32 v[6:7], s[28:29], v[12:13]
	;; [unrolled: 1-line block ×8, first 2 shown]
	v_fma_f64 v[60:61], v[14:15], s[8:9], -v[4:5]
	v_fma_f64 v[4:5], v[14:15], s[8:9], v[4:5]
	v_fma_f64 v[62:63], v[14:15], s[20:21], -v[6:7]
	v_fma_f64 v[6:7], v[14:15], s[20:21], v[6:7]
	;; [unrolled: 2-line block ×5, first 2 shown]
	v_mul_f64_e32 v[14:15], s[26:27], v[44:45]
	v_mul_f64_e32 v[44:45], s[24:25], v[44:45]
	v_fma_f64 v[120:121], v[46:47], s[20:21], v[112:113]
	v_fma_f64 v[112:113], v[46:47], s[20:21], -v[112:113]
	v_fma_f64 v[122:123], v[46:47], s[16:17], v[114:115]
	v_fma_f64 v[114:115], v[46:47], s[16:17], -v[114:115]
	;; [unrolled: 2-line block ×3, first 2 shown]
	v_add_f64_e32 v[4:5], v[0:1], v[4:5]
	v_add_f64_e32 v[62:63], v[0:1], v[62:63]
	;; [unrolled: 1-line block ×8, first 2 shown]
	v_fma_f64 v[118:119], v[46:47], s[8:9], v[14:15]
	v_fma_f64 v[14:15], v[46:47], s[8:9], -v[14:15]
	v_fma_f64 v[126:127], v[46:47], s[14:15], v[44:45]
	v_fma_f64 v[44:45], v[46:47], s[14:15], -v[44:45]
	v_add_f64_e32 v[46:47], v[0:1], v[60:61]
	v_add_f64_e32 v[120:121], v[2:3], v[120:121]
	;; [unrolled: 1-line block ×12, first 2 shown]
	v_mul_f64_e32 v[44:45], s[28:29], v[54:55]
	s_delay_alu instid0(VALU_DEP_1) | instskip(SKIP_1) | instid1(VALU_DEP_2)
	v_fma_f64 v[12:13], v[40:41], s[20:21], -v[44:45]
	v_fma_f64 v[44:45], v[40:41], s[20:21], v[44:45]
	v_add_f64_e32 v[12:13], v[12:13], v[46:47]
	v_mul_f64_e32 v[46:47], s[28:29], v[52:53]
	s_delay_alu instid0(VALU_DEP_3) | instskip(NEXT) | instid1(VALU_DEP_2)
	v_add_f64_e32 v[4:5], v[44:45], v[4:5]
	v_fma_f64 v[14:15], v[42:43], s[20:21], v[46:47]
	v_fma_f64 v[44:45], v[42:43], s[20:21], -v[46:47]
	s_delay_alu instid0(VALU_DEP_2) | instskip(SKIP_1) | instid1(VALU_DEP_3)
	v_add_f64_e32 v[14:15], v[14:15], v[60:61]
	v_mul_f64_e32 v[60:61], s[2:3], v[18:19]
	v_add_f64_e32 v[44:45], v[44:45], v[118:119]
	s_delay_alu instid0(VALU_DEP_2) | instskip(SKIP_1) | instid1(VALU_DEP_2)
	v_fma_f64 v[128:129], v[20:21], s[16:17], -v[60:61]
	v_fma_f64 v[46:47], v[20:21], s[16:17], v[60:61]
	v_add_f64_e32 v[12:13], v[128:129], v[12:13]
	v_mul_f64_e32 v[128:129], s[2:3], v[16:17]
	s_delay_alu instid0(VALU_DEP_3) | instskip(NEXT) | instid1(VALU_DEP_2)
	v_add_f64_e32 v[4:5], v[46:47], v[4:5]
	v_fma_f64 v[130:131], v[22:23], s[16:17], v[128:129]
	v_fma_f64 v[46:47], v[22:23], s[16:17], -v[128:129]
	s_delay_alu instid0(VALU_DEP_2) | instskip(SKIP_1) | instid1(VALU_DEP_3)
	v_add_f64_e32 v[14:15], v[130:131], v[14:15]
	v_mul_f64_e32 v[130:131], s[22:23], v[26:27]
	v_add_f64_e32 v[44:45], v[46:47], v[44:45]
	s_delay_alu instid0(VALU_DEP_2) | instskip(SKIP_1) | instid1(VALU_DEP_2)
	;; [unrolled: 13-line block ×3, first 2 shown]
	v_fma_f64 v[136:137], v[36:37], s[14:15], -v[134:135]
	v_fma_f64 v[46:47], v[36:37], s[14:15], v[134:135]
	v_add_f64_e32 v[12:13], v[136:137], v[12:13]
	v_mul_f64_e32 v[136:137], s[24:25], v[32:33]
	s_delay_alu instid0(VALU_DEP_3) | instskip(SKIP_2) | instid1(VALU_DEP_4)
	v_add_f64_e32 v[128:129], v[46:47], v[4:5]
	v_mul_f64_e32 v[4:5], s[22:23], v[54:55]
	v_mul_f64_e32 v[46:47], s[22:23], v[52:53]
	v_fma_f64 v[60:61], v[38:39], s[14:15], -v[136:137]
	v_fma_f64 v[138:139], v[38:39], s[14:15], v[136:137]
	v_mul_f64_e32 v[136:137], s[36:37], v[24:25]
	s_delay_alu instid0(VALU_DEP_3)
	v_add_f64_e32 v[130:131], v[60:61], v[44:45]
	v_fma_f64 v[44:45], v[40:41], s[18:19], -v[4:5]
	v_fma_f64 v[60:61], v[42:43], s[18:19], v[46:47]
	v_fma_f64 v[4:5], v[40:41], s[18:19], v[4:5]
	v_add_f64_e32 v[14:15], v[138:139], v[14:15]
	v_mul_f64_e32 v[138:139], s[30:31], v[34:35]
	v_add_f64_e32 v[44:45], v[44:45], v[62:63]
	v_mul_f64_e32 v[62:63], s[38:39], v[18:19]
	v_add_f64_e32 v[60:61], v[60:61], v[120:121]
	v_add_f64_e32 v[4:5], v[4:5], v[6:7]
	v_fma_f64 v[6:7], v[42:43], s[18:19], -v[46:47]
	s_delay_alu instid0(VALU_DEP_4) | instskip(SKIP_1) | instid1(VALU_DEP_3)
	v_fma_f64 v[118:119], v[20:21], s[14:15], -v[62:63]
	v_fma_f64 v[46:47], v[20:21], s[14:15], v[62:63]
	v_add_f64_e32 v[6:7], v[6:7], v[112:113]
	s_delay_alu instid0(VALU_DEP_3) | instskip(SKIP_1) | instid1(VALU_DEP_4)
	v_add_f64_e32 v[44:45], v[118:119], v[44:45]
	v_mul_f64_e32 v[118:119], s[38:39], v[16:17]
	v_add_f64_e32 v[4:5], v[46:47], v[4:5]
	s_delay_alu instid0(VALU_DEP_2) | instskip(SKIP_1) | instid1(VALU_DEP_2)
	v_fma_f64 v[120:121], v[22:23], s[14:15], v[118:119]
	v_fma_f64 v[46:47], v[22:23], s[14:15], -v[118:119]
	v_add_f64_e32 v[60:61], v[120:121], v[60:61]
	v_mul_f64_e32 v[120:121], s[36:37], v[26:27]
	s_delay_alu instid0(VALU_DEP_3) | instskip(NEXT) | instid1(VALU_DEP_2)
	v_add_f64_e32 v[6:7], v[46:47], v[6:7]
	v_fma_f64 v[132:133], v[28:29], s[16:17], -v[120:121]
	v_fma_f64 v[46:47], v[28:29], s[16:17], v[120:121]
	s_delay_alu instid0(VALU_DEP_2) | instskip(SKIP_1) | instid1(VALU_DEP_3)
	v_add_f64_e32 v[44:45], v[132:133], v[44:45]
	v_fma_f64 v[132:133], v[30:31], s[16:17], v[136:137]
	v_add_f64_e32 v[4:5], v[46:47], v[4:5]
	v_fma_f64 v[46:47], v[30:31], s[16:17], -v[136:137]
	s_delay_alu instid0(VALU_DEP_3) | instskip(SKIP_1) | instid1(VALU_DEP_3)
	v_add_f64_e32 v[60:61], v[132:133], v[60:61]
	v_fma_f64 v[132:133], v[36:37], s[8:9], -v[138:139]
	v_add_f64_e32 v[6:7], v[46:47], v[6:7]
	v_fma_f64 v[46:47], v[36:37], s[8:9], v[138:139]
	s_delay_alu instid0(VALU_DEP_3) | instskip(SKIP_1) | instid1(VALU_DEP_3)
	v_add_f64_e32 v[132:133], v[132:133], v[44:45]
	v_mul_f64_e32 v[44:45], s[30:31], v[32:33]
	v_add_f64_e32 v[136:137], v[46:47], v[4:5]
	v_mul_f64_e32 v[4:5], s[38:39], v[54:55]
	s_delay_alu instid0(VALU_DEP_3) | instskip(SKIP_1) | instid1(VALU_DEP_2)
	v_fma_f64 v[134:135], v[38:39], s[8:9], v[44:45]
	v_fma_f64 v[44:45], v[38:39], s[8:9], -v[44:45]
	v_add_f64_e32 v[134:135], v[134:135], v[60:61]
	s_delay_alu instid0(VALU_DEP_2) | instskip(SKIP_4) | instid1(VALU_DEP_4)
	v_add_f64_e32 v[138:139], v[44:45], v[6:7]
	v_fma_f64 v[6:7], v[40:41], s[14:15], -v[4:5]
	v_mul_f64_e32 v[60:61], s[34:35], v[18:19]
	v_mul_f64_e32 v[44:45], s[38:39], v[52:53]
	v_fma_f64 v[4:5], v[40:41], s[14:15], v[4:5]
	v_add_f64_e32 v[6:7], v[6:7], v[92:93]
	s_delay_alu instid0(VALU_DEP_4) | instskip(NEXT) | instid1(VALU_DEP_4)
	v_fma_f64 v[62:63], v[20:21], s[20:21], -v[60:61]
	v_fma_f64 v[46:47], v[42:43], s[14:15], v[44:45]
	s_delay_alu instid0(VALU_DEP_4)
	v_add_f64_e32 v[4:5], v[4:5], v[48:49]
	v_fma_f64 v[44:45], v[42:43], s[14:15], -v[44:45]
	v_mul_f64_e32 v[48:49], s[26:27], v[18:19]
	v_mul_f64_e32 v[18:19], s[22:23], v[18:19]
	v_add_f64_e32 v[6:7], v[62:63], v[6:7]
	v_mul_f64_e32 v[62:63], s[34:35], v[16:17]
	v_add_f64_e32 v[46:47], v[46:47], v[122:123]
	v_add_f64_e32 v[44:45], v[44:45], v[114:115]
	v_mul_f64_e32 v[114:115], s[36:37], v[172:173]
	s_delay_alu instid0(VALU_DEP_4) | instskip(NEXT) | instid1(VALU_DEP_1)
	v_fma_f64 v[92:93], v[22:23], s[20:21], v[62:63]
	v_add_f64_e32 v[46:47], v[92:93], v[46:47]
	v_mul_f64_e32 v[92:93], s[26:27], v[26:27]
	s_delay_alu instid0(VALU_DEP_1) | instskip(NEXT) | instid1(VALU_DEP_1)
	v_fma_f64 v[112:113], v[28:29], s[8:9], -v[92:93]
	v_add_f64_e32 v[6:7], v[112:113], v[6:7]
	v_mul_f64_e32 v[112:113], s[26:27], v[24:25]
	s_delay_alu instid0(VALU_DEP_1) | instskip(NEXT) | instid1(VALU_DEP_1)
	v_fma_f64 v[118:119], v[30:31], s[8:9], v[112:113]
	v_add_f64_e32 v[46:47], v[118:119], v[46:47]
	v_mul_f64_e32 v[118:119], s[22:23], v[34:35]
	s_delay_alu instid0(VALU_DEP_1) | instskip(NEXT) | instid1(VALU_DEP_1)
	v_fma_f64 v[120:121], v[36:37], s[18:19], -v[118:119]
	v_add_f64_e32 v[140:141], v[120:121], v[6:7]
	v_mul_f64_e32 v[6:7], s[22:23], v[32:33]
	s_delay_alu instid0(VALU_DEP_1) | instskip(SKIP_1) | instid1(VALU_DEP_2)
	v_fma_f64 v[120:121], v[38:39], s[18:19], v[6:7]
	v_fma_f64 v[6:7], v[38:39], s[18:19], -v[6:7]
	v_add_f64_e32 v[142:143], v[120:121], v[46:47]
	v_fma_f64 v[46:47], v[20:21], s[20:21], v[60:61]
	v_fma_f64 v[60:61], v[20:21], s[8:9], -v[48:49]
	s_delay_alu instid0(VALU_DEP_2) | instskip(SKIP_1) | instid1(VALU_DEP_1)
	v_add_f64_e32 v[4:5], v[46:47], v[4:5]
	v_fma_f64 v[46:47], v[22:23], s[20:21], -v[62:63]
	v_add_f64_e32 v[44:45], v[46:47], v[44:45]
	v_fma_f64 v[46:47], v[28:29], s[8:9], v[92:93]
	s_delay_alu instid0(VALU_DEP_1) | instskip(SKIP_1) | instid1(VALU_DEP_1)
	v_add_f64_e32 v[4:5], v[46:47], v[4:5]
	v_fma_f64 v[46:47], v[30:31], s[8:9], -v[112:113]
	v_add_f64_e32 v[44:45], v[46:47], v[44:45]
	v_fma_f64 v[46:47], v[36:37], s[18:19], v[118:119]
	v_mul_f64_e32 v[118:119], s[38:39], v[168:169]
	s_delay_alu instid0(VALU_DEP_3) | instskip(NEXT) | instid1(VALU_DEP_3)
	v_add_f64_e32 v[146:147], v[6:7], v[44:45]
	v_add_f64_e32 v[144:145], v[46:47], v[4:5]
	v_mul_f64_e32 v[4:5], s[36:37], v[54:55]
	v_mul_f64_e32 v[44:45], s[36:37], v[52:53]
	s_delay_alu instid0(VALU_DEP_2) | instskip(NEXT) | instid1(VALU_DEP_2)
	v_fma_f64 v[6:7], v[40:41], s[16:17], -v[4:5]
	v_fma_f64 v[46:47], v[42:43], s[16:17], v[44:45]
	v_fma_f64 v[4:5], v[40:41], s[16:17], v[4:5]
	v_fma_f64 v[44:45], v[42:43], s[16:17], -v[44:45]
	s_delay_alu instid0(VALU_DEP_4) | instskip(NEXT) | instid1(VALU_DEP_4)
	v_add_f64_e32 v[6:7], v[6:7], v[94:95]
	v_add_f64_e32 v[46:47], v[46:47], v[124:125]
	s_delay_alu instid0(VALU_DEP_4) | instskip(NEXT) | instid1(VALU_DEP_4)
	v_add_f64_e32 v[4:5], v[4:5], v[50:51]
	v_add_f64_e32 v[44:45], v[44:45], v[116:117]
	;; [unrolled: 1-line block ×3, first 2 shown]
	v_mul_f64_e32 v[124:125], s[22:23], v[164:165]
	v_mul_f64_e32 v[116:117], s[38:39], v[166:167]
	v_add_f64_e32 v[6:7], v[60:61], v[6:7]
	v_mul_f64_e32 v[60:61], s[26:27], v[16:17]
	v_mul_f64_e32 v[16:17], s[22:23], v[16:17]
	s_delay_alu instid0(VALU_DEP_2) | instskip(NEXT) | instid1(VALU_DEP_1)
	v_fma_f64 v[62:63], v[22:23], s[8:9], v[60:61]
	v_add_f64_e32 v[46:47], v[62:63], v[46:47]
	v_mul_f64_e32 v[62:63], s[24:25], v[26:27]
	v_mul_f64_e32 v[26:27], s[34:35], v[26:27]
	s_delay_alu instid0(VALU_DEP_2) | instskip(NEXT) | instid1(VALU_DEP_1)
	v_fma_f64 v[92:93], v[28:29], s[14:15], -v[62:63]
	v_add_f64_e32 v[6:7], v[92:93], v[6:7]
	v_mul_f64_e32 v[92:93], s[24:25], v[24:25]
	v_mul_f64_e32 v[24:25], s[34:35], v[24:25]
	s_delay_alu instid0(VALU_DEP_2) | instskip(NEXT) | instid1(VALU_DEP_1)
	v_fma_f64 v[94:95], v[30:31], s[14:15], v[92:93]
	v_add_f64_e32 v[46:47], v[94:95], v[46:47]
	v_mul_f64_e32 v[94:95], s[34:35], v[34:35]
	v_mul_f64_e32 v[34:35], s[2:3], v[34:35]
	s_delay_alu instid0(VALU_DEP_2) | instskip(NEXT) | instid1(VALU_DEP_1)
	v_fma_f64 v[112:113], v[36:37], s[20:21], -v[94:95]
	v_add_f64_e32 v[148:149], v[112:113], v[6:7]
	v_mul_f64_e32 v[6:7], s[34:35], v[32:33]
	v_mul_f64_e32 v[32:33], s[2:3], v[32:33]
	s_delay_alu instid0(VALU_DEP_2) | instskip(SKIP_1) | instid1(VALU_DEP_2)
	v_fma_f64 v[112:113], v[38:39], s[20:21], v[6:7]
	v_fma_f64 v[6:7], v[38:39], s[20:21], -v[6:7]
	v_add_f64_e32 v[150:151], v[112:113], v[46:47]
	v_fma_f64 v[46:47], v[20:21], s[8:9], v[48:49]
	v_fma_f64 v[48:49], v[20:21], s[18:19], -v[18:19]
	v_fma_f64 v[18:19], v[20:21], s[18:19], v[18:19]
	v_mul_f64_e32 v[112:113], s[30:31], v[176:177]
	s_delay_alu instid0(VALU_DEP_4) | instskip(SKIP_2) | instid1(VALU_DEP_2)
	v_add_f64_e32 v[4:5], v[46:47], v[4:5]
	v_fma_f64 v[46:47], v[22:23], s[8:9], -v[60:61]
	v_mul_f64_e32 v[60:61], s[30:31], v[174:175]
	v_add_f64_e32 v[44:45], v[46:47], v[44:45]
	v_fma_f64 v[46:47], v[28:29], s[14:15], v[62:63]
	v_mul_f64_e32 v[62:63], s[36:37], v[170:171]
	s_delay_alu instid0(VALU_DEP_2) | instskip(SKIP_2) | instid1(VALU_DEP_2)
	v_add_f64_e32 v[4:5], v[46:47], v[4:5]
	v_fma_f64 v[46:47], v[30:31], s[14:15], -v[92:93]
	v_add_f64_e64 v[92:93], v[66:67], -v[110:111]
	v_add_f64_e32 v[44:45], v[46:47], v[44:45]
	v_fma_f64 v[46:47], v[36:37], s[20:21], v[94:95]
	v_add_f64_e64 v[94:95], v[70:71], -v[106:107]
	s_delay_alu instid0(VALU_DEP_4) | instskip(NEXT) | instid1(VALU_DEP_4)
	v_mul_f64_e32 v[122:123], s[28:29], v[92:93]
	v_add_f64_e32 v[154:155], v[6:7], v[44:45]
	s_delay_alu instid0(VALU_DEP_4)
	v_add_f64_e32 v[152:153], v[46:47], v[4:5]
	v_mul_f64_e32 v[4:5], s[30:31], v[54:55]
	v_mul_f64_e32 v[44:45], s[30:31], v[52:53]
	;; [unrolled: 1-line block ×3, first 2 shown]
	v_add_f64_e32 v[54:55], v[66:67], v[110:111]
	v_add_f64_e32 v[52:53], v[70:71], v[106:107]
	v_mul_f64_e32 v[120:121], s[22:23], v[94:95]
	v_fma_f64 v[6:7], v[40:41], s[8:9], -v[4:5]
	v_fma_f64 v[46:47], v[42:43], s[8:9], v[44:45]
	v_fma_f64 v[4:5], v[40:41], s[8:9], v[4:5]
	v_add_f64_e32 v[40:41], v[76:77], v[84:85]
	v_fma_f64 v[182:183], v[52:53], s[14:15], v[180:181]
	v_add_f64_e32 v[6:7], v[6:7], v[98:99]
	v_add_f64_e32 v[46:47], v[46:47], v[126:127]
	;; [unrolled: 1-line block ×3, first 2 shown]
	v_fma_f64 v[4:5], v[28:29], s[20:21], v[26:27]
	v_add_f64_e64 v[98:99], v[64:65], -v[108:109]
	v_add_f64_e32 v[6:7], v[48:49], v[6:7]
	v_fma_f64 v[48:49], v[22:23], s[18:19], v[16:17]
	v_fma_f64 v[16:17], v[22:23], s[18:19], -v[16:17]
	v_add_f64_e32 v[0:1], v[18:19], v[0:1]
	v_fma_f64 v[18:19], v[38:39], s[16:17], -v[32:33]
	v_mul_f64_e32 v[22:23], s[2:3], v[166:167]
	v_mul_f64_e32 v[126:127], s[28:29], v[98:99]
	;; [unrolled: 1-line block ×3, first 2 shown]
	v_add_f64_e32 v[46:47], v[48:49], v[46:47]
	v_fma_f64 v[48:49], v[28:29], s[20:21], -v[26:27]
	v_add_f64_e32 v[0:1], v[4:5], v[0:1]
	v_mul_f64_e32 v[26:27], s[22:23], v[172:173]
	v_mul_f64_e32 v[28:29], s[24:25], v[176:177]
	s_delay_alu instid0(VALU_DEP_4) | instskip(SKIP_1) | instid1(VALU_DEP_1)
	v_add_f64_e32 v[6:7], v[48:49], v[6:7]
	v_fma_f64 v[48:49], v[30:31], s[20:21], v[24:25]
	v_add_f64_e32 v[46:47], v[48:49], v[46:47]
	v_fma_f64 v[48:49], v[36:37], s[16:17], -v[34:35]
	s_delay_alu instid0(VALU_DEP_1) | instskip(SKIP_4) | instid1(VALU_DEP_4)
	v_add_f64_e32 v[156:157], v[48:49], v[6:7]
	v_fma_f64 v[6:7], v[38:39], s[16:17], v[32:33]
	v_add_f64_e32 v[38:39], v[68:69], v[104:105]
	v_mul_f64_e32 v[32:33], s[28:29], v[164:165]
	v_add_f64_e32 v[48:49], v[78:79], v[86:87]
	v_add_f64_e32 v[158:159], v[6:7], v[46:47]
	v_fma_f64 v[6:7], v[42:43], s[8:9], -v[44:45]
	v_mul_f64_e32 v[44:45], s[26:27], v[98:99]
	v_fma_f64 v[4:5], v[52:53], s[20:21], -v[32:33]
	v_add_f64_e32 v[46:47], v[72:73], v[80:81]
	v_add_f64_e32 v[42:43], v[102:103], v[90:91]
	;; [unrolled: 1-line block ×3, first 2 shown]
	v_fma_f64 v[6:7], v[30:31], s[20:21], -v[24:25]
	v_mul_f64_e32 v[24:25], s[26:27], v[92:93]
	v_mul_f64_e32 v[30:31], s[2:3], v[168:169]
	s_delay_alu instid0(VALU_DEP_4) | instskip(SKIP_3) | instid1(VALU_DEP_4)
	v_add_f64_e32 v[2:3], v[16:17], v[2:3]
	v_fma_f64 v[16:17], v[36:37], s[16:17], v[34:35]
	v_add_f64_e32 v[36:37], v[64:65], v[108:109]
	v_add_f64_e32 v[34:35], v[100:101], v[88:89]
	;; [unrolled: 1-line block ×3, first 2 shown]
	s_delay_alu instid0(VALU_DEP_4) | instskip(NEXT) | instid1(VALU_DEP_4)
	v_add_f64_e32 v[160:161], v[16:17], v[0:1]
	v_fma_f64 v[0:1], v[36:37], s[8:9], v[24:25]
	v_mul_f64_e32 v[16:17], s[22:23], v[170:171]
	s_delay_alu instid0(VALU_DEP_4) | instskip(SKIP_1) | instid1(VALU_DEP_4)
	v_add_f64_e32 v[162:163], v[18:19], v[2:3]
	v_fma_f64 v[2:3], v[38:39], s[20:21], v[20:21]
	v_add_f64_e32 v[0:1], v[56:57], v[0:1]
	v_mul_f64_e32 v[18:19], s[24:25], v[174:175]
	s_delay_alu instid0(VALU_DEP_2) | instskip(SKIP_1) | instid1(VALU_DEP_1)
	v_add_f64_e32 v[0:1], v[2:3], v[0:1]
	v_fma_f64 v[2:3], v[54:55], s[8:9], -v[44:45]
	v_add_f64_e32 v[2:3], v[58:59], v[2:3]
	s_delay_alu instid0(VALU_DEP_1) | instskip(SKIP_1) | instid1(VALU_DEP_1)
	v_add_f64_e32 v[2:3], v[4:5], v[2:3]
	v_fma_f64 v[4:5], v[46:47], s[16:17], v[22:23]
	v_add_f64_e32 v[0:1], v[4:5], v[0:1]
	v_fma_f64 v[4:5], v[50:51], s[16:17], -v[30:31]
	s_delay_alu instid0(VALU_DEP_1) | instskip(SKIP_1) | instid1(VALU_DEP_1)
	v_add_f64_e32 v[2:3], v[4:5], v[2:3]
	v_fma_f64 v[4:5], v[40:41], s[18:19], v[16:17]
	v_add_f64_e32 v[0:1], v[4:5], v[0:1]
	v_fma_f64 v[4:5], v[48:49], s[18:19], -v[26:27]
	;; [unrolled: 5-line block ×3, first 2 shown]
	s_delay_alu instid0(VALU_DEP_1)
	v_add_f64_e32 v[6:7], v[0:1], v[2:3]
	v_fma_f64 v[0:1], v[36:37], s[20:21], v[122:123]
	v_fma_f64 v[2:3], v[38:39], s[18:19], v[120:121]
	scratch_store_b128 off, v[4:7], off offset:8 ; 16-byte Folded Spill
	v_add_f64_e32 v[0:1], v[56:57], v[0:1]
	v_fma_f64 v[4:5], v[52:53], s[18:19], -v[124:125]
	s_delay_alu instid0(VALU_DEP_2) | instskip(SKIP_1) | instid1(VALU_DEP_1)
	v_add_f64_e32 v[0:1], v[2:3], v[0:1]
	v_fma_f64 v[2:3], v[54:55], s[20:21], -v[126:127]
	v_add_f64_e32 v[2:3], v[58:59], v[2:3]
	s_delay_alu instid0(VALU_DEP_1) | instskip(SKIP_1) | instid1(VALU_DEP_1)
	v_add_f64_e32 v[2:3], v[4:5], v[2:3]
	v_fma_f64 v[4:5], v[46:47], s[14:15], v[116:117]
	v_add_f64_e32 v[0:1], v[4:5], v[0:1]
	v_fma_f64 v[4:5], v[50:51], s[14:15], -v[118:119]
	s_delay_alu instid0(VALU_DEP_1) | instskip(SKIP_1) | instid1(VALU_DEP_1)
	v_add_f64_e32 v[2:3], v[4:5], v[2:3]
	v_fma_f64 v[4:5], v[40:41], s[16:17], v[62:63]
	v_add_f64_e32 v[0:1], v[4:5], v[0:1]
	v_fma_f64 v[4:5], v[48:49], s[16:17], -v[114:115]
	;; [unrolled: 5-line block ×3, first 2 shown]
	s_delay_alu instid0(VALU_DEP_1) | instskip(SKIP_3) | instid1(VALU_DEP_2)
	v_add_f64_e32 v[6:7], v[0:1], v[2:3]
	scratch_store_b128 off, v[4:7], off offset:24 ; 16-byte Folded Spill
	v_mul_f64_e32 v[4:5], s[2:3], v[92:93]
	v_mul_f64_e32 v[6:7], s[38:39], v[94:95]
	v_fma_f64 v[0:1], v[36:37], s[16:17], -v[4:5]
	s_delay_alu instid0(VALU_DEP_2) | instskip(SKIP_2) | instid1(VALU_DEP_4)
	v_fma_f64 v[2:3], v[38:39], s[14:15], -v[6:7]
	v_fma_f64 v[4:5], v[36:37], s[16:17], v[4:5]
	v_fma_f64 v[6:7], v[38:39], s[14:15], v[6:7]
	v_add_f64_e32 v[0:1], v[56:57], v[0:1]
	s_delay_alu instid0(VALU_DEP_3) | instskip(NEXT) | instid1(VALU_DEP_2)
	v_add_f64_e32 v[4:5], v[56:57], v[4:5]
	v_add_f64_e32 v[0:1], v[2:3], v[0:1]
	v_fma_f64 v[2:3], v[54:55], s[16:17], v[178:179]
	s_delay_alu instid0(VALU_DEP_3) | instskip(SKIP_2) | instid1(VALU_DEP_4)
	v_add_f64_e32 v[4:5], v[6:7], v[4:5]
	v_fma_f64 v[6:7], v[54:55], s[16:17], -v[178:179]
	v_fma_f64 v[178:179], v[52:53], s[14:15], -v[180:181]
	v_add_f64_e32 v[2:3], v[58:59], v[2:3]
	s_delay_alu instid0(VALU_DEP_3) | instskip(NEXT) | instid1(VALU_DEP_2)
	v_add_f64_e32 v[6:7], v[58:59], v[6:7]
	v_add_f64_e32 v[2:3], v[182:183], v[2:3]
	v_mul_f64_e32 v[182:183], s[34:35], v[166:167]
	s_delay_alu instid0(VALU_DEP_3) | instskip(NEXT) | instid1(VALU_DEP_2)
	v_add_f64_e32 v[6:7], v[178:179], v[6:7]
	v_fma_f64 v[184:185], v[46:47], s[20:21], -v[182:183]
	v_fma_f64 v[178:179], v[46:47], s[20:21], v[182:183]
	v_mul_f64_e32 v[182:183], s[22:23], v[98:99]
	v_mul_f64_e32 v[98:99], s[24:25], v[98:99]
	s_delay_alu instid0(VALU_DEP_4) | instskip(SKIP_2) | instid1(VALU_DEP_2)
	v_add_f64_e32 v[0:1], v[184:185], v[0:1]
	v_mul_f64_e32 v[184:185], s[34:35], v[168:169]
	v_add_f64_e32 v[4:5], v[178:179], v[4:5]
	v_fma_f64 v[186:187], v[50:51], s[20:21], v[184:185]
	v_fma_f64 v[178:179], v[50:51], s[20:21], -v[184:185]
	v_mul_f64_e32 v[184:185], s[36:37], v[164:165]
	v_mul_f64_e32 v[164:165], s[30:31], v[164:165]
	s_delay_alu instid0(VALU_DEP_4) | instskip(SKIP_2) | instid1(VALU_DEP_2)
	v_add_f64_e32 v[2:3], v[186:187], v[2:3]
	v_mul_f64_e32 v[186:187], s[26:27], v[170:171]
	v_add_f64_e32 v[6:7], v[178:179], v[6:7]
	v_fma_f64 v[188:189], v[40:41], s[8:9], -v[186:187]
	v_fma_f64 v[178:179], v[40:41], s[8:9], v[186:187]
	v_fma_f64 v[186:187], v[52:53], s[16:17], v[184:185]
	s_delay_alu instid0(VALU_DEP_3) | instskip(SKIP_1) | instid1(VALU_DEP_4)
	v_add_f64_e32 v[0:1], v[188:189], v[0:1]
	v_mul_f64_e32 v[188:189], s[26:27], v[172:173]
	v_add_f64_e32 v[4:5], v[178:179], v[4:5]
	s_delay_alu instid0(VALU_DEP_2) | instskip(SKIP_1) | instid1(VALU_DEP_2)
	v_fma_f64 v[190:191], v[48:49], s[8:9], v[188:189]
	v_fma_f64 v[178:179], v[48:49], s[8:9], -v[188:189]
	v_add_f64_e32 v[2:3], v[190:191], v[2:3]
	v_mul_f64_e32 v[190:191], s[22:23], v[174:175]
	s_delay_alu instid0(VALU_DEP_3) | instskip(NEXT) | instid1(VALU_DEP_2)
	v_add_f64_e32 v[6:7], v[178:179], v[6:7]
	v_fma_f64 v[192:193], v[34:35], s[18:19], -v[190:191]
	v_fma_f64 v[178:179], v[34:35], s[18:19], v[190:191]
	s_delay_alu instid0(VALU_DEP_2) | instskip(SKIP_1) | instid1(VALU_DEP_3)
	v_add_f64_e32 v[0:1], v[192:193], v[0:1]
	v_mul_f64_e32 v[192:193], s[22:23], v[176:177]
	v_add_f64_e32 v[4:5], v[178:179], v[4:5]
	v_mul_f64_e32 v[178:179], s[22:23], v[92:93]
	s_delay_alu instid0(VALU_DEP_3) | instskip(SKIP_1) | instid1(VALU_DEP_2)
	v_fma_f64 v[180:181], v[42:43], s[18:19], -v[192:193]
	v_fma_f64 v[194:195], v[42:43], s[18:19], v[192:193]
	v_add_f64_e32 v[6:7], v[180:181], v[6:7]
	v_mul_f64_e32 v[180:181], s[36:37], v[94:95]
	s_delay_alu instid0(VALU_DEP_3)
	v_add_f64_e32 v[2:3], v[194:195], v[2:3]
	scratch_store_b128 off, v[4:7], off offset:40 ; 16-byte Folded Spill
	v_fma_f64 v[4:5], v[36:37], s[18:19], -v[178:179]
	v_fma_f64 v[6:7], v[38:39], s[16:17], -v[180:181]
	v_fma_f64 v[178:179], v[36:37], s[18:19], v[178:179]
	v_fma_f64 v[180:181], v[38:39], s[16:17], v[180:181]
	s_delay_alu instid0(VALU_DEP_4) | instskip(NEXT) | instid1(VALU_DEP_3)
	v_add_f64_e32 v[4:5], v[56:57], v[4:5]
	v_add_f64_e32 v[178:179], v[56:57], v[178:179]
	s_delay_alu instid0(VALU_DEP_2) | instskip(SKIP_1) | instid1(VALU_DEP_3)
	v_add_f64_e32 v[4:5], v[6:7], v[4:5]
	v_fma_f64 v[6:7], v[54:55], s[18:19], v[182:183]
	v_add_f64_e32 v[178:179], v[180:181], v[178:179]
	v_fma_f64 v[180:181], v[54:55], s[18:19], -v[182:183]
	v_fma_f64 v[182:183], v[52:53], s[16:17], -v[184:185]
	s_delay_alu instid0(VALU_DEP_4) | instskip(NEXT) | instid1(VALU_DEP_3)
	v_add_f64_e32 v[6:7], v[58:59], v[6:7]
	v_add_f64_e32 v[180:181], v[58:59], v[180:181]
	s_delay_alu instid0(VALU_DEP_2) | instskip(SKIP_1) | instid1(VALU_DEP_3)
	v_add_f64_e32 v[6:7], v[186:187], v[6:7]
	v_mul_f64_e32 v[186:187], s[26:27], v[166:167]
	v_add_f64_e32 v[180:181], v[182:183], v[180:181]
	v_mul_f64_e32 v[166:167], s[22:23], v[166:167]
	s_delay_alu instid0(VALU_DEP_3) | instskip(SKIP_1) | instid1(VALU_DEP_2)
	v_fma_f64 v[188:189], v[46:47], s[8:9], -v[186:187]
	v_fma_f64 v[182:183], v[46:47], s[8:9], v[186:187]
	v_add_f64_e32 v[4:5], v[188:189], v[4:5]
	v_mul_f64_e32 v[188:189], s[26:27], v[168:169]
	s_delay_alu instid0(VALU_DEP_3) | instskip(SKIP_1) | instid1(VALU_DEP_3)
	v_add_f64_e32 v[178:179], v[182:183], v[178:179]
	v_mul_f64_e32 v[168:169], s[22:23], v[168:169]
	v_fma_f64 v[190:191], v[50:51], s[8:9], v[188:189]
	v_fma_f64 v[182:183], v[50:51], s[8:9], -v[188:189]
	s_delay_alu instid0(VALU_DEP_2) | instskip(SKIP_1) | instid1(VALU_DEP_3)
	v_add_f64_e32 v[6:7], v[190:191], v[6:7]
	v_mul_f64_e32 v[190:191], s[24:25], v[170:171]
	v_add_f64_e32 v[180:181], v[182:183], v[180:181]
	v_mul_f64_e32 v[170:171], s[34:35], v[170:171]
	s_delay_alu instid0(VALU_DEP_3) | instskip(SKIP_1) | instid1(VALU_DEP_2)
	v_fma_f64 v[192:193], v[40:41], s[14:15], -v[190:191]
	v_fma_f64 v[182:183], v[40:41], s[14:15], v[190:191]
	v_add_f64_e32 v[4:5], v[192:193], v[4:5]
	v_mul_f64_e32 v[192:193], s[24:25], v[172:173]
	s_delay_alu instid0(VALU_DEP_3) | instskip(SKIP_1) | instid1(VALU_DEP_3)
	v_add_f64_e32 v[178:179], v[182:183], v[178:179]
	v_mul_f64_e32 v[172:173], s[34:35], v[172:173]
	v_fma_f64 v[194:195], v[48:49], s[14:15], v[192:193]
	v_fma_f64 v[182:183], v[48:49], s[14:15], -v[192:193]
	s_delay_alu instid0(VALU_DEP_2) | instskip(SKIP_1) | instid1(VALU_DEP_3)
	v_add_f64_e32 v[6:7], v[194:195], v[6:7]
	v_mul_f64_e32 v[194:195], s[34:35], v[174:175]
	v_add_f64_e32 v[180:181], v[182:183], v[180:181]
	v_mul_f64_e32 v[174:175], s[2:3], v[174:175]
	s_delay_alu instid0(VALU_DEP_3) | instskip(SKIP_1) | instid1(VALU_DEP_2)
	v_fma_f64 v[196:197], v[34:35], s[20:21], -v[194:195]
	v_fma_f64 v[182:183], v[34:35], s[20:21], v[194:195]
	v_add_f64_e32 v[4:5], v[196:197], v[4:5]
	v_mul_f64_e32 v[196:197], s[34:35], v[176:177]
	s_delay_alu instid0(VALU_DEP_3)
	v_add_f64_e32 v[178:179], v[182:183], v[178:179]
	v_fma_f64 v[182:183], v[52:53], s[8:9], v[164:165]
	v_fma_f64 v[164:165], v[52:53], s[8:9], -v[164:165]
	v_mul_f64_e32 v[176:177], s[2:3], v[176:177]
	s_load_b64 s[2:3], s[0:1], 0x8
	v_add_co_u32 v208, s0, 0x6e, v200
	v_fma_f64 v[184:185], v[42:43], s[20:21], -v[196:197]
	v_fma_f64 v[198:199], v[42:43], s[20:21], v[196:197]
	s_delay_alu instid0(VALU_DEP_2) | instskip(NEXT) | instid1(VALU_DEP_2)
	v_add_f64_e32 v[180:181], v[184:185], v[180:181]
	v_add_f64_e32 v[6:7], v[198:199], v[6:7]
	scratch_store_b128 off, v[178:181], off offset:56 ; 16-byte Folded Spill
	v_mul_f64_e32 v[178:179], s[24:25], v[92:93]
	v_mul_f64_e32 v[180:181], s[30:31], v[94:95]
	s_delay_alu instid0(VALU_DEP_2) | instskip(NEXT) | instid1(VALU_DEP_2)
	v_fma_f64 v[92:93], v[36:37], s[14:15], -v[178:179]
	v_fma_f64 v[94:95], v[38:39], s[8:9], -v[180:181]
	v_fma_f64 v[178:179], v[36:37], s[14:15], v[178:179]
	v_fma_f64 v[180:181], v[38:39], s[8:9], v[180:181]
	s_delay_alu instid0(VALU_DEP_4) | instskip(NEXT) | instid1(VALU_DEP_3)
	v_add_f64_e32 v[92:93], v[56:57], v[92:93]
	v_add_f64_e32 v[178:179], v[56:57], v[178:179]
	s_delay_alu instid0(VALU_DEP_2) | instskip(SKIP_2) | instid1(VALU_DEP_4)
	v_add_f64_e32 v[92:93], v[94:95], v[92:93]
	v_fma_f64 v[94:95], v[54:55], s[14:15], v[98:99]
	v_fma_f64 v[98:99], v[54:55], s[14:15], -v[98:99]
	v_add_f64_e32 v[178:179], v[180:181], v[178:179]
	s_delay_alu instid0(VALU_DEP_3) | instskip(NEXT) | instid1(VALU_DEP_3)
	v_add_f64_e32 v[94:95], v[58:59], v[94:95]
	v_add_f64_e32 v[98:99], v[58:59], v[98:99]
	s_delay_alu instid0(VALU_DEP_2) | instskip(SKIP_1) | instid1(VALU_DEP_3)
	v_add_f64_e32 v[94:95], v[182:183], v[94:95]
	v_fma_f64 v[182:183], v[46:47], s[18:19], -v[166:167]
	v_add_f64_e32 v[98:99], v[164:165], v[98:99]
	v_fma_f64 v[164:165], v[46:47], s[18:19], v[166:167]
	v_fma_f64 v[166:167], v[50:51], s[18:19], -v[168:169]
	s_delay_alu instid0(VALU_DEP_4) | instskip(SKIP_1) | instid1(VALU_DEP_4)
	v_add_f64_e32 v[92:93], v[182:183], v[92:93]
	v_fma_f64 v[182:183], v[50:51], s[18:19], v[168:169]
	v_add_f64_e32 v[164:165], v[164:165], v[178:179]
	s_delay_alu instid0(VALU_DEP_4) | instskip(SKIP_4) | instid1(VALU_DEP_4)
	v_add_f64_e32 v[98:99], v[166:167], v[98:99]
	v_fma_f64 v[166:167], v[40:41], s[20:21], v[170:171]
	v_fma_f64 v[168:169], v[42:43], s[16:17], -v[176:177]
	v_add_f64_e32 v[94:95], v[182:183], v[94:95]
	v_fma_f64 v[182:183], v[40:41], s[20:21], -v[170:171]
	v_add_f64_e32 v[164:165], v[166:167], v[164:165]
	v_fma_f64 v[166:167], v[48:49], s[20:21], -v[172:173]
	s_delay_alu instid0(VALU_DEP_3) | instskip(SKIP_1) | instid1(VALU_DEP_3)
	v_add_f64_e32 v[92:93], v[182:183], v[92:93]
	v_fma_f64 v[182:183], v[48:49], s[20:21], v[172:173]
	v_add_f64_e32 v[98:99], v[166:167], v[98:99]
	v_fma_f64 v[166:167], v[34:35], s[16:17], v[174:175]
	s_delay_alu instid0(VALU_DEP_3) | instskip(SKIP_1) | instid1(VALU_DEP_1)
	v_add_f64_e32 v[94:95], v[182:183], v[94:95]
	v_fma_f64 v[182:183], v[34:35], s[16:17], -v[174:175]
	v_add_f64_e32 v[92:93], v[182:183], v[92:93]
	v_fma_f64 v[182:183], v[42:43], s[16:17], v[176:177]
	s_delay_alu instid0(VALU_DEP_1)
	v_add_f64_e32 v[94:95], v[182:183], v[94:95]
	scratch_store_b128 off, v[92:95], off offset:88 ; 16-byte Folded Spill
	v_add_f64_e32 v[92:93], v[166:167], v[164:165]
	v_add_f64_e32 v[94:95], v[168:169], v[98:99]
	scratch_store_b128 off, v[92:95], off offset:72 ; 16-byte Folded Spill
	v_mul_lo_u16 v92, v200, 11
	global_wb scope:SCOPE_SE
	s_wait_storecnt 0x0
	s_wait_kmcnt 0x0
	s_barrier_signal -1
	s_barrier_wait -1
	global_inv scope:SCOPE_SE
	v_and_b32_e32 v92, 0xffff, v92
	s_delay_alu instid0(VALU_DEP_1)
	v_lshlrev_b32_e32 v99, 4, v92
	ds_store_b128 v99, v[8:11]
	ds_store_b128 v99, v[12:15] offset:16
	ds_store_b128 v99, v[132:135] offset:32
	;; [unrolled: 1-line block ×10, first 2 shown]
	s_wait_alu 0xf1ff
	v_add_co_ci_u32_e64 v8, null, 0, 0, s0
	v_mul_u32_u24_e32 v8, 11, v208
	scratch_store_b32 off, v8, off offset:548 ; 4-byte Folded Spill
	s_and_saveexec_b32 s0, vcc_lo
	s_cbranch_execz .LBB0_7
; %bb.6:
	v_add_f64_e32 v[10:11], v[56:57], v[64:65]
	v_mul_f64_e32 v[12:13], s[20:21], v[54:55]
	v_mul_f64_e32 v[14:15], s[20:21], v[36:37]
	v_mul_f64_e32 v[36:37], s[8:9], v[36:37]
	v_add_f64_e32 v[8:9], v[58:59], v[66:67]
	v_mul_f64_e32 v[54:55], s[8:9], v[54:55]
	v_mul_f64_e32 v[64:65], s[18:19], v[52:53]
	v_mul_f64_e32 v[66:67], s[18:19], v[38:39]
	v_mul_f64_e32 v[38:39], s[20:21], v[38:39]
	v_mul_f64_e32 v[52:53], s[20:21], v[52:53]
	v_add_f64_e32 v[10:11], v[10:11], v[68:69]
	v_add_f64_e32 v[12:13], v[126:127], v[12:13]
	v_add_f64_e64 v[14:15], v[14:15], -v[122:123]
	v_add_f64_e64 v[24:25], v[36:37], -v[24:25]
	v_mul_f64_e32 v[36:37], s[16:17], v[46:47]
	v_add_f64_e32 v[44:45], v[44:45], v[54:55]
	v_mul_f64_e32 v[54:55], s[16:17], v[50:51]
	v_mul_f64_e32 v[50:51], s[14:15], v[50:51]
	v_add_f64_e32 v[64:65], v[124:125], v[64:65]
	v_add_f64_e64 v[20:21], v[38:39], -v[20:21]
	v_add_f64_e32 v[32:33], v[32:33], v[52:53]
	v_mul_f64_e32 v[52:53], s[18:19], v[48:49]
	v_mul_f64_e32 v[48:49], s[16:17], v[48:49]
	v_add_f64_e32 v[8:9], v[8:9], v[70:71]
	v_mul_f64_e32 v[46:47], s[14:15], v[46:47]
	v_add_f64_e64 v[66:67], v[66:67], -v[120:121]
	v_add_f64_e32 v[10:11], v[10:11], v[72:73]
	v_add_f64_e32 v[12:13], v[58:59], v[12:13]
	;; [unrolled: 1-line block ×4, first 2 shown]
	v_add_f64_e64 v[22:23], v[36:37], -v[22:23]
	v_add_f64_e32 v[38:39], v[58:59], v[44:45]
	v_mul_f64_e32 v[44:45], s[18:19], v[40:41]
	v_add_f64_e32 v[50:51], v[118:119], v[50:51]
	v_add_f64_e32 v[30:31], v[30:31], v[54:55]
	v_mul_f64_e32 v[36:37], s[14:15], v[42:43]
	v_mul_f64_e32 v[40:41], s[16:17], v[40:41]
	v_add_f64_e32 v[26:27], v[26:27], v[52:53]
	v_add_f64_e32 v[8:9], v[8:9], v[74:75]
	v_add_f64_e64 v[46:47], v[46:47], -v[116:117]
	v_add_f64_e32 v[10:11], v[10:11], v[76:77]
	v_add_f64_e32 v[12:13], v[64:65], v[12:13]
	;; [unrolled: 1-line block ×4, first 2 shown]
	v_mul_f64_e32 v[24:25], s[14:15], v[34:35]
	v_add_f64_e32 v[32:33], v[32:33], v[38:39]
	v_mul_f64_e32 v[38:39], s[8:9], v[42:43]
	v_add_f64_e32 v[42:43], v[114:115], v[48:49]
	v_add_f64_e64 v[16:17], v[44:45], -v[16:17]
	v_mul_f64_e32 v[34:35], s[8:9], v[34:35]
	v_add_f64_e64 v[40:41], v[40:41], -v[62:63]
	v_add_f64_e32 v[28:29], v[28:29], v[36:37]
	v_add_f64_e32 v[8:9], v[8:9], v[78:79]
	;; [unrolled: 1-line block ×6, first 2 shown]
	v_add_f64_e64 v[24:25], v[24:25], -v[18:19]
	v_add_f64_e32 v[30:31], v[30:31], v[32:33]
	v_add_f64_e32 v[22:23], v[112:113], v[38:39]
	v_add_f64_e64 v[32:33], v[34:35], -v[60:61]
	v_add_f64_e32 v[8:9], v[8:9], v[102:103]
	v_add_f64_e32 v[10:11], v[10:11], v[88:89]
	;; [unrolled: 1-line block ×8, first 2 shown]
	s_delay_alu instid0(VALU_DEP_2) | instskip(NEXT) | instid1(VALU_DEP_2)
	v_add_f64_e32 v[8:9], v[8:9], v[86:87]
	v_add_f64_e32 v[10:11], v[10:11], v[80:81]
	s_delay_alu instid0(VALU_DEP_2) | instskip(NEXT) | instid1(VALU_DEP_2)
	v_add_f64_e32 v[8:9], v[8:9], v[82:83]
	v_add_f64_e32 v[30:31], v[10:11], v[104:105]
	;; [unrolled: 1-line block ×4, first 2 shown]
	scratch_load_b128 v[21:24], off, off offset:88 ; 16-byte Folded Reload
	v_mul_u32_u24_e32 v20, 11, v208
	s_delay_alu instid0(VALU_DEP_1)
	v_lshlrev_b32_e32 v20, 4, v20
	v_add_f64_e32 v[26:27], v[8:9], v[106:107]
	ds_store_b128 v20, v[4:7] offset:64
	v_add_f64_e32 v[8:9], v[32:33], v[14:15]
	v_add_f64_e32 v[14:15], v[28:29], v[18:19]
	;; [unrolled: 1-line block ×4, first 2 shown]
	s_wait_loadcnt 0x0
	ds_store_b128 v20, v[21:24] offset:80
	scratch_load_b128 v[21:24], off, off offset:72 ; 16-byte Folded Reload
	s_wait_loadcnt 0x0
	ds_store_b128 v20, v[21:24] offset:96
	scratch_load_b128 v[21:24], off, off offset:56 ; 16-byte Folded Reload
	;; [unrolled: 3-line block ×4, first 2 shown]
	s_wait_loadcnt 0x0
	ds_store_b128 v20, v[21:24] offset:144
	ds_store_b128 v20, v[8:11] offset:32
	;; [unrolled: 1-line block ×3, first 2 shown]
	ds_store_b128 v20, v[16:19]
	ds_store_b128 v20, v[12:15] offset:16
	scratch_load_b128 v[8:11], off, off offset:8 ; 16-byte Folded Reload
	s_wait_loadcnt 0x0
	ds_store_b128 v20, v[8:11] offset:160
.LBB0_7:
	s_wait_alu 0xfffe
	s_or_b32 exec_lo, exec_lo, s0
	global_wb scope:SCOPE_SE
	s_wait_storecnt_dscnt 0x0
	s_barrier_signal -1
	s_barrier_wait -1
	global_inv scope:SCOPE_SE
	ds_load_b128 v[8:11], v96
	ds_load_b128 v[12:15], v96 offset:1760
	ds_load_b128 v[36:39], v96 offset:14960
	;; [unrolled: 1-line block ×13, first 2 shown]
	v_cmp_gt_u16_e64 s0, 55, v200
	s_delay_alu instid0(VALU_DEP_1)
	s_and_saveexec_b32 s1, s0
	s_cbranch_execz .LBB0_9
; %bb.8:
	ds_load_b128 v[0:3], v96 offset:12320
	ds_load_b128 v[4:7], v96 offset:25520
.LBB0_9:
	s_wait_alu 0xfffe
	s_or_b32 exec_lo, exec_lo, s1
	v_and_b32_e32 v45, 0xff, v200
	v_and_b32_e32 v44, 0xff, v208
	v_add_co_u32 v224, s1, 0xdc, v200
	v_add_co_u32 v47, null, 0x14a, v200
	s_delay_alu instid0(VALU_DEP_4) | instskip(NEXT) | instid1(VALU_DEP_4)
	v_mul_lo_u16 v45, 0x75, v45
	v_mul_lo_u16 v46, 0x75, v44
	v_add_co_u32 v51, null, 0x226, v200
	v_add_co_u32 v53, null, 0x294, v200
	s_delay_alu instid0(VALU_DEP_4) | instskip(NEXT) | instid1(VALU_DEP_4)
	v_lshrrev_b16 v48, 8, v45
	v_lshrrev_b16 v49, 8, v46
	v_add_co_u32 v46, null, 0x1b8, v200
	v_and_b32_e32 v54, 0xffff, v47
	s_delay_alu instid0(VALU_DEP_4) | instskip(NEXT) | instid1(VALU_DEP_4)
	v_sub_nc_u16 v45, v200, v48
	v_sub_nc_u16 v50, v208, v49
	s_delay_alu instid0(VALU_DEP_4)
	v_and_b32_e32 v55, 0xffff, v46
	v_and_b32_e32 v56, 0xffff, v51
	;; [unrolled: 1-line block ×3, first 2 shown]
	v_lshrrev_b16 v52, 1, v45
	v_lshrrev_b16 v50, 1, v50
	v_and_b32_e32 v45, 0xffff, v224
	s_wait_alu 0xf1ff
	v_add_co_ci_u32_e64 v225, null, 0, 0, s1
	v_and_b32_e32 v52, 0x7f, v52
	v_and_b32_e32 v50, 0x7f, v50
	s_delay_alu instid0(VALU_DEP_2) | instskip(NEXT) | instid1(VALU_DEP_2)
	v_add_nc_u16 v52, v52, v48
	v_add_nc_u16 v58, v50, v49
	v_mul_u32_u24_e32 v50, 0xba2f, v45
	v_mul_u32_u24_e32 v49, 0xba2f, v54
	;; [unrolled: 1-line block ×3, first 2 shown]
	v_lshrrev_b16 v83, 3, v52
	v_lshrrev_b16 v84, 3, v58
	v_mul_u32_u24_e32 v52, 0xba2f, v56
	v_mul_u32_u24_e32 v54, 0xba2f, v57
	v_lshrrev_b32_e32 v85, 19, v50
	v_mul_lo_u16 v55, v83, 11
	v_mul_lo_u16 v56, v84, 11
	v_lshrrev_b32_e32 v86, 19, v49
	v_lshrrev_b32_e32 v87, 19, v48
	;; [unrolled: 1-line block ×3, first 2 shown]
	v_sub_nc_u16 v52, v200, v55
	v_sub_nc_u16 v55, v208, v56
	v_lshrrev_b32_e32 v89, 19, v54
	v_mul_lo_u16 v54, v85, 11
	v_mul_lo_u16 v56, v86, 11
	v_and_b32_e32 v90, 0xff, v52
	v_mul_lo_u16 v52, v87, 11
	v_and_b32_e32 v91, 0xff, v55
	v_mul_lo_u16 v55, v88, 11
	v_sub_nc_u16 v92, v224, v54
	v_sub_nc_u16 v93, v47, v56
	v_mul_lo_u16 v57, v89, 11
	v_sub_nc_u16 v94, v46, v52
	v_sub_nc_u16 v95, v51, v55
	v_and_b32_e32 v52, 0xffff, v92
	v_and_b32_e32 v51, 0xffff, v93
	v_sub_nc_u16 v97, v53, v57
	v_and_b32_e32 v53, 0xffff, v94
	v_lshlrev_b32_e32 v58, 4, v90
	v_lshlrev_b32_e32 v52, 4, v52
	v_and_b32_e32 v54, 0xffff, v95
	v_lshlrev_b32_e32 v51, 4, v51
	v_lshlrev_b32_e32 v59, 4, v91
	v_and_b32_e32 v55, 0xffff, v97
	v_lshlrev_b32_e32 v53, 4, v53
	s_clause 0x3
	global_load_b128 v[129:132], v58, s[2:3]
	global_load_b128 v[79:82], v59, s[2:3]
	;; [unrolled: 1-line block ×4, first 2 shown]
	v_lshlrev_b32_e32 v52, 4, v54
	v_lshlrev_b32_e32 v51, 4, v55
	s_clause 0x1
	global_load_b128 v[133:136], v53, s[2:3]
	global_load_b128 v[125:128], v52, s[2:3]
	v_add_nc_u16 v52, v200, 0x302
	global_load_b128 v[145:148], v51, s[2:3]
	v_and_b32_e32 v51, 0xffff, v52
	s_delay_alu instid0(VALU_DEP_1) | instskip(NEXT) | instid1(VALU_DEP_1)
	v_mul_u32_u24_e32 v51, 0xba2f, v51
	v_lshrrev_b32_e32 v98, 19, v51
	s_delay_alu instid0(VALU_DEP_1) | instskip(NEXT) | instid1(VALU_DEP_1)
	v_mul_lo_u16 v51, v98, 11
	v_sub_nc_u16 v120, v52, v51
	s_delay_alu instid0(VALU_DEP_1) | instskip(NEXT) | instid1(VALU_DEP_1)
	v_and_b32_e32 v51, 0xffff, v120
	v_lshlrev_b32_e32 v51, 4, v51
	global_load_b128 v[121:124], v51, s[2:3]
	s_wait_loadcnt_dscnt 0x703
	v_mul_f64_e32 v[51:52], v[118:119], v[131:132]
	v_mul_f64_e32 v[53:54], v[116:117], v[131:132]
	s_wait_loadcnt 0x6
	v_mul_f64_e32 v[55:56], v[38:39], v[81:82]
	v_mul_f64_e32 v[57:58], v[36:37], v[81:82]
	s_wait_loadcnt 0x4
	v_mul_f64_e32 v[63:64], v[102:103], v[139:140]
	v_mul_f64_e32 v[65:66], v[100:101], v[139:140]
	;; [unrolled: 1-line block ×4, first 2 shown]
	s_wait_loadcnt_dscnt 0x201
	v_mul_f64_e32 v[71:72], v[114:115], v[127:128]
	v_mul_f64_e32 v[73:74], v[112:113], v[127:128]
	;; [unrolled: 1-line block ×4, first 2 shown]
	s_wait_loadcnt_dscnt 0x100
	v_mul_f64_e32 v[75:76], v[110:111], v[147:148]
	v_mul_f64_e32 v[77:78], v[108:109], v[147:148]
	s_clause 0x6
	scratch_store_b128 off, v[79:82], off offset:292
	scratch_store_b128 off, v[125:128], off offset:308
	;; [unrolled: 1-line block ×7, first 2 shown]
	v_fma_f64 v[51:52], v[116:117], v[129:130], -v[51:52]
	v_fma_f64 v[53:54], v[118:119], v[129:130], v[53:54]
	v_fma_f64 v[55:56], v[36:37], v[79:80], -v[55:56]
	v_fma_f64 v[57:58], v[38:39], v[79:80], v[57:58]
	;; [unrolled: 2-line block ×5, first 2 shown]
	v_fma_f64 v[67:68], v[104:105], v[133:134], -v[67:68]
	s_wait_loadcnt 0x0
	v_mul_f64_e32 v[79:80], v[6:7], v[123:124]
	v_mul_f64_e32 v[81:82], v[4:5], v[123:124]
	v_fma_f64 v[69:70], v[106:107], v[133:134], v[69:70]
	v_fma_f64 v[75:76], v[108:109], v[145:146], -v[75:76]
	v_fma_f64 v[77:78], v[110:111], v[145:146], v[77:78]
	scratch_store_b128 off, v[121:124], off offset:552 ; 16-byte Folded Spill
	v_mad_u16 v113, v98, 22, v120
	global_wb scope:SCOPE_SE
	s_wait_storecnt 0x0
	s_barrier_signal -1
	s_barrier_wait -1
	global_inv scope:SCOPE_SE
	v_add_f64_e64 v[36:37], v[8:9], -v[51:52]
	v_add_f64_e64 v[38:39], v[10:11], -v[53:54]
	;; [unrolled: 1-line block ×11, first 2 shown]
	v_fma_f64 v[71:72], v[4:5], v[121:122], -v[79:80]
	v_fma_f64 v[73:74], v[6:7], v[121:122], v[81:82]
	v_add_f64_e64 v[61:62], v[30:31], -v[69:70]
	v_add_f64_e64 v[67:68], v[32:33], -v[75:76]
	;; [unrolled: 1-line block ×3, first 2 shown]
	v_mad_u16 v75, v85, 22, v92
	v_mad_u16 v76, v86, 22, v93
	;; [unrolled: 1-line block ×3, first 2 shown]
	v_fma_f64 v[4:5], v[8:9], 2.0, -v[36:37]
	v_fma_f64 v[6:7], v[10:11], 2.0, -v[38:39]
	;; [unrolled: 1-line block ×11, first 2 shown]
	v_add_f64_e64 v[148:149], v[0:1], -v[71:72]
	v_add_f64_e64 v[150:151], v[2:3], -v[73:74]
	v_fma_f64 v[22:23], v[30:31], 2.0, -v[61:62]
	v_fma_f64 v[28:29], v[32:33], 2.0, -v[67:68]
	v_fma_f64 v[30:31], v[34:35], 2.0, -v[69:70]
	v_mad_u16 v32, v88, 22, v95
	v_mad_u16 v33, v89, 22, v97
	v_and_b32_e32 v34, 0xffff, v75
	v_and_b32_e32 v35, 0xffff, v76
	;; [unrolled: 1-line block ×7, first 2 shown]
	v_lshlrev_b32_e32 v121, 4, v34
	v_lshlrev_b32_e32 v120, 4, v35
	v_mul_u32_u24_e32 v34, 22, v72
	v_mul_u32_u24_e32 v35, 22, v73
	v_lshlrev_b32_e32 v119, 4, v71
	v_lshlrev_b32_e32 v114, 4, v32
	;; [unrolled: 1-line block ×3, first 2 shown]
	v_add_lshl_u32 v128, v34, v90, 4
	v_add_lshl_u32 v127, v35, v91, 4
	ds_store_b128 v128, v[4:7]
	ds_store_b128 v128, v[36:39] offset:176
	ds_store_b128 v127, v[8:11]
	ds_store_b128 v127, v[40:43] offset:176
	;; [unrolled: 2-line block ×7, first 2 shown]
	s_and_saveexec_b32 s1, s0
	s_cbranch_execz .LBB0_11
; %bb.10:
	v_fma_f64 v[2:3], v[2:3], 2.0, -v[150:151]
	v_fma_f64 v[0:1], v[0:1], 2.0, -v[148:149]
	v_and_b32_e32 v4, 0xffff, v113
	s_delay_alu instid0(VALU_DEP_1)
	v_lshlrev_b32_e32 v4, 4, v4
	ds_store_b128 v4, v[0:3]
	ds_store_b128 v4, v[148:151] offset:176
.LBB0_11:
	s_wait_alu 0xfffe
	s_or_b32 exec_lo, exec_lo, s1
	v_lshrrev_b32_e32 v40, 20, v50
	global_wb scope:SCOPE_SE
	s_wait_dscnt 0x0
	s_barrier_signal -1
	s_barrier_wait -1
	global_inv scope:SCOPE_SE
	v_mul_lo_u16 v0, v40, 22
	v_lshrrev_b32_e32 v42, 20, v49
	s_mov_b32 s8, 0xe8584caa
	s_mov_b32 s9, 0x3febb67a
	;; [unrolled: 1-line block ×3, first 2 shown]
	v_sub_nc_u16 v41, v224, v0
	s_wait_alu 0xfffe
	s_mov_b32 s14, s8
	s_mov_b32 s16, 0x134454ff
	s_mov_b32 s17, 0x3fee6f0e
	s_mov_b32 s19, 0xbfee6f0e
	v_lshlrev_b16 v0, 5, v41
	s_wait_alu 0xfffe
	s_mov_b32 s18, s16
	s_mov_b32 s20, 0x372fe950
	s_mov_b32 s21, 0x3fd3c6ef
	v_and_b32_e32 v0, 0xffff, v0
	s_delay_alu instid0(VALU_DEP_1)
	v_add_co_u32 v0, s1, s2, v0
	s_wait_alu 0xf1ff
	v_add_co_ci_u32_e64 v1, null, s3, 0, s1
	s_clause 0x1
	global_load_b128 v[26:29], v[0:1], off offset:176
	global_load_b128 v[50:53], v[0:1], off offset:192
	v_mul_lo_u16 v0, v42, 22
	s_delay_alu instid0(VALU_DEP_1) | instskip(SKIP_1) | instid1(VALU_DEP_2)
	v_sub_nc_u16 v43, v47, v0
	v_lshrrev_b32_e32 v47, 20, v48
	v_lshlrev_b16 v0, 5, v43
	s_delay_alu instid0(VALU_DEP_1) | instskip(NEXT) | instid1(VALU_DEP_1)
	v_and_b32_e32 v0, 0xffff, v0
	v_add_co_u32 v0, s1, s2, v0
	s_wait_alu 0xf1ff
	v_add_co_ci_u32_e64 v1, null, s3, 0, s1
	s_clause 0x1
	global_load_b128 v[54:57], v[0:1], off offset:176
	global_load_b128 v[58:61], v[0:1], off offset:192
	v_mul_lo_u16 v0, v47, 22
	s_delay_alu instid0(VALU_DEP_1) | instskip(NEXT) | instid1(VALU_DEP_1)
	v_sub_nc_u16 v46, v46, v0
	v_lshlrev_b16 v0, 5, v46
	s_delay_alu instid0(VALU_DEP_1) | instskip(NEXT) | instid1(VALU_DEP_1)
	v_and_b32_e32 v0, 0xffff, v0
	v_add_co_u32 v0, s1, s2, v0
	s_wait_alu 0xf1ff
	v_add_co_ci_u32_e64 v1, null, s3, 0, s1
	s_clause 0x1
	global_load_b128 v[62:65], v[0:1], off offset:176
	global_load_b128 v[66:69], v[0:1], off offset:192
	ds_load_b128 v[0:3], v96 offset:12320
	ds_load_b128 v[4:7], v96 offset:21120
	;; [unrolled: 1-line block ×5, first 2 shown]
	s_wait_loadcnt_dscnt 0x504
	v_mul_f64_e32 v[16:17], v[2:3], v[28:29]
	v_mul_f64_e32 v[18:19], v[0:1], v[28:29]
	s_wait_loadcnt_dscnt 0x403
	v_mul_f64_e32 v[20:21], v[6:7], v[52:53]
	v_mul_f64_e32 v[22:23], v[4:5], v[52:53]
	s_clause 0x1
	scratch_store_b128 off, v[26:29], off offset:420
	scratch_store_b128 off, v[50:53], off offset:404
	s_wait_loadcnt 0x3
	scratch_store_b128 off, v[54:57], off offset:436 ; 16-byte Folded Spill
	s_wait_loadcnt 0x2
	scratch_store_b128 off, v[58:61], off offset:452 ; 16-byte Folded Spill
	v_fma_f64 v[24:25], v[0:1], v[26:27], -v[16:17]
	v_fma_f64 v[30:31], v[2:3], v[26:27], v[18:19]
	ds_load_b128 v[0:3], v96 offset:15840
	v_fma_f64 v[28:29], v[4:5], v[50:51], -v[20:21]
	v_fma_f64 v[32:33], v[6:7], v[50:51], v[22:23]
	s_wait_dscnt 0x2
	v_mul_f64_e32 v[4:5], v[14:15], v[56:57]
	v_mul_f64_e32 v[6:7], v[12:13], v[56:57]
	s_wait_loadcnt 0x1
	scratch_store_b128 off, v[62:65], off offset:468 ; 16-byte Folded Spill
	s_wait_loadcnt 0x0
	scratch_store_b128 off, v[66:69], off offset:484 ; 16-byte Folded Spill
	v_fma_f64 v[16:17], v[12:13], v[54:55], -v[4:5]
	v_fma_f64 v[18:19], v[14:15], v[54:55], v[6:7]
	s_wait_dscnt 0x1
	v_mul_f64_e32 v[4:5], v[10:11], v[60:61]
	v_mul_f64_e32 v[6:7], v[8:9], v[60:61]
	s_delay_alu instid0(VALU_DEP_2) | instskip(NEXT) | instid1(VALU_DEP_2)
	v_fma_f64 v[20:21], v[8:9], v[58:59], -v[4:5]
	v_fma_f64 v[22:23], v[10:11], v[58:59], v[6:7]
	s_wait_dscnt 0x0
	v_mul_f64_e32 v[4:5], v[2:3], v[64:65]
	v_mul_f64_e32 v[6:7], v[0:1], v[64:65]
	v_add_f64_e32 v[58:59], v[30:31], v[32:33]
	s_delay_alu instid0(VALU_DEP_3) | instskip(NEXT) | instid1(VALU_DEP_3)
	v_fma_f64 v[8:9], v[0:1], v[62:63], -v[4:5]
	v_fma_f64 v[10:11], v[2:3], v[62:63], v[6:7]
	ds_load_b128 v[0:3], v96 offset:24640
	s_wait_dscnt 0x0
	v_mul_f64_e32 v[4:5], v[2:3], v[68:69]
	s_delay_alu instid0(VALU_DEP_1) | instskip(SKIP_1) | instid1(VALU_DEP_1)
	v_fma_f64 v[12:13], v[0:1], v[66:67], -v[4:5]
	v_mul_f64_e32 v[0:1], v[0:1], v[68:69]
	v_fma_f64 v[14:15], v[2:3], v[66:67], v[0:1]
	v_lshrrev_b16 v0, 1, v44
	s_delay_alu instid0(VALU_DEP_1) | instskip(NEXT) | instid1(VALU_DEP_1)
	v_mul_lo_u16 v0, 0xbb, v0
	v_lshrrev_b16 v48, 11, v0
	s_delay_alu instid0(VALU_DEP_1) | instskip(SKIP_1) | instid1(VALU_DEP_2)
	v_mul_lo_u16 v0, v48, 22
	v_and_b32_e32 v48, 0xffff, v48
	v_sub_nc_u16 v0, v208, v0
	s_delay_alu instid0(VALU_DEP_2) | instskip(NEXT) | instid1(VALU_DEP_2)
	v_mul_u32_u24_e32 v48, 0x42, v48
	v_and_b32_e32 v49, 0xff, v0
	s_delay_alu instid0(VALU_DEP_1)
	v_lshlrev_b32_e32 v0, 5, v49
	s_clause 0x1
	global_load_b128 v[2:5], v0, s[2:3] offset:176
	global_load_b128 v[50:53], v0, s[2:3] offset:192
	v_add_lshl_u32 v147, v48, v49, 4
	s_wait_loadcnt 0x1
	v_mul_f64_e32 v[0:1], v[36:37], v[4:5]
	scratch_store_b128 off, v[2:5], off offset:516 ; 16-byte Folded Spill
	v_fma_f64 v[26:27], v[34:35], v[2:3], -v[0:1]
	v_mul_f64_e32 v[0:1], v[34:35], v[4:5]
	s_delay_alu instid0(VALU_DEP_1)
	v_fma_f64 v[34:35], v[36:37], v[2:3], v[0:1]
	ds_load_b128 v[4:7], v96 offset:19360
	ds_load_b128 v[0:3], v96 offset:17600
	s_wait_loadcnt 0x0
	scratch_store_b128 off, v[50:53], off offset:500 ; 16-byte Folded Spill
	s_wait_dscnt 0x1
	v_mul_f64_e32 v[36:37], v[6:7], v[52:53]
	s_delay_alu instid0(VALU_DEP_1) | instskip(SKIP_1) | instid1(VALU_DEP_1)
	v_fma_f64 v[36:37], v[4:5], v[50:51], -v[36:37]
	v_mul_f64_e32 v[4:5], v[4:5], v[52:53]
	v_fma_f64 v[38:39], v[6:7], v[50:51], v[4:5]
	v_lshrrev_b16 v4, 1, v200
	s_delay_alu instid0(VALU_DEP_1) | instskip(NEXT) | instid1(VALU_DEP_1)
	v_and_b32_e32 v4, 0x7f, v4
	v_mul_lo_u16 v4, 0xbb, v4
	s_delay_alu instid0(VALU_DEP_1) | instskip(NEXT) | instid1(VALU_DEP_1)
	v_lshrrev_b16 v51, 11, v4
	v_mul_lo_u16 v4, v51, 22
	v_and_b32_e32 v51, 0xffff, v51
	s_delay_alu instid0(VALU_DEP_2) | instskip(NEXT) | instid1(VALU_DEP_2)
	v_sub_nc_u16 v4, v200, v4
	v_mul_u32_u24_e32 v51, 0x42, v51
	s_delay_alu instid0(VALU_DEP_2) | instskip(NEXT) | instid1(VALU_DEP_1)
	v_and_b32_e32 v50, 0xff, v4
	v_lshlrev_b32_e32 v4, 5, v50
	s_clause 0x1
	global_load_b128 v[134:137], v4, s[2:3] offset:176
	global_load_b128 v[130:133], v4, s[2:3] offset:192
	ds_load_b128 v[4:7], v96 offset:8800
	ds_load_b128 v[52:55], v96 offset:7040
	v_add_lshl_u32 v152, v51, v50, 4
	s_wait_loadcnt_dscnt 0x101
	v_mul_f64_e32 v[56:57], v[6:7], v[136:137]
	s_delay_alu instid0(VALU_DEP_1) | instskip(SKIP_2) | instid1(VALU_DEP_2)
	v_fma_f64 v[68:69], v[4:5], v[134:135], -v[56:57]
	v_mul_f64_e32 v[4:5], v[4:5], v[136:137]
	v_add_f64_e32 v[56:57], v[24:25], v[28:29]
	v_fma_f64 v[70:71], v[6:7], v[134:135], v[4:5]
	s_wait_loadcnt 0x0
	v_mul_f64_e32 v[4:5], v[2:3], v[132:133]
	s_delay_alu instid0(VALU_DEP_1) | instskip(SKIP_1) | instid1(VALU_DEP_1)
	v_fma_f64 v[72:73], v[0:1], v[130:131], -v[4:5]
	v_mul_f64_e32 v[0:1], v[0:1], v[132:133]
	v_fma_f64 v[74:75], v[2:3], v[130:131], v[0:1]
	ds_load_b128 v[0:3], v96 offset:3520
	ds_load_b128 v[4:7], v96 offset:5280
	;; [unrolled: 1-line block ×3, first 2 shown]
	ds_load_b128 v[64:67], v96
	global_wb scope:SCOPE_SE
	s_wait_storecnt_dscnt 0x0
	s_barrier_signal -1
	s_barrier_wait -1
	global_inv scope:SCOPE_SE
	v_fma_f64 v[56:57], v[56:57], -0.5, v[0:1]
	v_fma_f64 v[58:59], v[58:59], -0.5, v[2:3]
	v_add_f64_e32 v[2:3], v[2:3], v[30:31]
	v_add_f64_e32 v[0:1], v[0:1], v[24:25]
	v_add_f64_e64 v[30:31], v[30:31], -v[32:33]
	v_add_f64_e64 v[24:25], v[24:25], -v[28:29]
	s_delay_alu instid0(VALU_DEP_4) | instskip(NEXT) | instid1(VALU_DEP_4)
	v_add_f64_e32 v[2:3], v[2:3], v[32:33]
	v_add_f64_e32 v[0:1], v[0:1], v[28:29]
	s_delay_alu instid0(VALU_DEP_4)
	v_fma_f64 v[28:29], v[30:31], s[8:9], v[56:57]
	v_fma_f64 v[56:57], v[30:31], s[14:15], v[56:57]
	;; [unrolled: 1-line block ×4, first 2 shown]
	v_add_f64_e32 v[24:25], v[16:17], v[20:21]
	v_add_f64_e32 v[32:33], v[18:19], v[22:23]
	s_delay_alu instid0(VALU_DEP_2) | instskip(NEXT) | instid1(VALU_DEP_2)
	v_fma_f64 v[24:25], v[24:25], -0.5, v[4:5]
	v_fma_f64 v[32:33], v[32:33], -0.5, v[6:7]
	v_add_f64_e32 v[6:7], v[6:7], v[18:19]
	v_add_f64_e32 v[4:5], v[4:5], v[16:17]
	v_add_f64_e64 v[18:19], v[18:19], -v[22:23]
	s_delay_alu instid0(VALU_DEP_3) | instskip(NEXT) | instid1(VALU_DEP_3)
	v_add_f64_e32 v[6:7], v[6:7], v[22:23]
	v_add_f64_e32 v[4:5], v[4:5], v[20:21]
	v_add_f64_e64 v[22:23], v[16:17], -v[20:21]
	s_delay_alu instid0(VALU_DEP_4) | instskip(SKIP_2) | instid1(VALU_DEP_4)
	v_fma_f64 v[16:17], v[18:19], s[8:9], v[24:25]
	v_fma_f64 v[20:21], v[18:19], s[14:15], v[24:25]
	v_add_f64_e32 v[24:25], v[26:27], v[36:37]
	v_fma_f64 v[18:19], v[22:23], s[14:15], v[32:33]
	v_fma_f64 v[22:23], v[22:23], s[8:9], v[32:33]
	v_add_f64_e32 v[32:33], v[60:61], v[26:27]
	s_delay_alu instid0(VALU_DEP_4) | instskip(SKIP_2) | instid1(VALU_DEP_4)
	v_fma_f64 v[76:77], v[24:25], -0.5, v[60:61]
	v_add_f64_e32 v[24:25], v[34:35], v[38:39]
	v_add_f64_e64 v[60:61], v[34:35], -v[38:39]
	v_add_f64_e32 v[32:33], v[32:33], v[36:37]
	s_delay_alu instid0(VALU_DEP_3) | instskip(SKIP_1) | instid1(VALU_DEP_1)
	v_fma_f64 v[78:79], v[24:25], -0.5, v[62:63]
	v_add_f64_e32 v[24:25], v[62:63], v[34:35]
	v_add_f64_e32 v[34:35], v[24:25], v[38:39]
	v_add_f64_e64 v[38:39], v[26:27], -v[36:37]
	v_fma_f64 v[24:25], v[60:61], s[8:9], v[76:77]
	v_fma_f64 v[36:37], v[60:61], s[14:15], v[76:77]
	v_add_f64_e32 v[60:61], v[68:69], v[72:73]
	s_delay_alu instid0(VALU_DEP_4) | instskip(SKIP_1) | instid1(VALU_DEP_3)
	v_fma_f64 v[26:27], v[38:39], s[14:15], v[78:79]
	v_fma_f64 v[38:39], v[38:39], s[8:9], v[78:79]
	v_fma_f64 v[76:77], v[60:61], -0.5, v[64:65]
	v_add_f64_e32 v[60:61], v[70:71], v[74:75]
	v_add_f64_e32 v[64:65], v[64:65], v[68:69]
	s_delay_alu instid0(VALU_DEP_2) | instskip(SKIP_3) | instid1(VALU_DEP_3)
	v_fma_f64 v[78:79], v[60:61], -0.5, v[66:67]
	v_add_f64_e32 v[60:61], v[66:67], v[70:71]
	v_add_f64_e64 v[66:67], v[70:71], -v[74:75]
	v_add_f64_e64 v[70:71], v[68:69], -v[72:73]
	v_add_f64_e32 v[62:63], v[60:61], v[74:75]
	v_add_f64_e32 v[74:75], v[10:11], v[14:15]
	;; [unrolled: 1-line block ×4, first 2 shown]
	v_fma_f64 v[64:65], v[66:67], s[8:9], v[76:77]
	v_fma_f64 v[68:69], v[66:67], s[14:15], v[76:77]
	;; [unrolled: 1-line block ×4, first 2 shown]
	ds_store_b128 v152, v[60:63]
	ds_store_b128 v152, v[64:67] offset:352
	ds_store_b128 v152, v[68:71] offset:704
	v_fma_f64 v[74:75], v[74:75], -0.5, v[54:55]
	v_add_f64_e32 v[54:55], v[54:55], v[10:11]
	v_fma_f64 v[72:73], v[72:73], -0.5, v[52:53]
	v_add_f64_e32 v[52:53], v[52:53], v[8:9]
	v_add_f64_e64 v[10:11], v[10:11], -v[14:15]
	ds_store_b128 v147, v[32:35]
	ds_store_b128 v147, v[24:27] offset:352
	ds_store_b128 v147, v[36:39] offset:704
	v_mad_u16 v24, 0x42, v40, v41
	s_delay_alu instid0(VALU_DEP_1) | instskip(NEXT) | instid1(VALU_DEP_1)
	v_and_b32_e32 v24, 0xffff, v24
	v_lshlrev_b32_e32 v146, 4, v24
	ds_store_b128 v146, v[0:3]
	ds_store_b128 v146, v[28:31] offset:352
	ds_store_b128 v146, v[56:59] offset:704
	v_mad_u16 v0, 0x42, v42, v43
	v_add_co_u32 v1, s1, 0xffffffbe, v200
	s_wait_alu 0xf1ff
	v_add_co_ci_u32_e64 v2, null, 0, -1, s1
	s_delay_alu instid0(VALU_DEP_3) | instskip(SKIP_1) | instid1(VALU_DEP_2)
	v_and_b32_e32 v0, 0xffff, v0
	v_cmp_gt_u16_e64 s1, 0x42, v200
	v_lshlrev_b32_e32 v129, 4, v0
	v_mad_u16 v0, 0x42, v47, v46
	ds_store_b128 v129, v[4:7]
	ds_store_b128 v129, v[16:19] offset:352
	ds_store_b128 v129, v[20:23] offset:704
	s_wait_alu 0xf1ff
	v_cndmask_b32_e64 v4, v1, v200, s1
	v_add_f64_e32 v[54:55], v[54:55], v[14:15]
	v_add_f64_e64 v[14:15], v[8:9], -v[12:13]
	v_add_f64_e32 v[52:53], v[52:53], v[12:13]
	v_fma_f64 v[8:9], v[10:11], s[8:9], v[72:73]
	v_fma_f64 v[12:13], v[10:11], s[14:15], v[72:73]
	v_cndmask_b32_e64 v5, v2, 0, s1
	v_and_b32_e32 v0, 0xffff, v0
	s_delay_alu instid0(VALU_DEP_1) | instskip(NEXT) | instid1(VALU_DEP_3)
	v_lshlrev_b32_e32 v122, 4, v0
	v_lshlrev_b64_e32 v[0:1], 6, v[4:5]
	s_delay_alu instid0(VALU_DEP_1) | instskip(SKIP_1) | instid1(VALU_DEP_2)
	v_add_co_u32 v5, s1, s2, v0
	s_wait_alu 0xf1ff
	v_add_co_ci_u32_e64 v6, s1, s3, v1, s1
	v_fma_f64 v[10:11], v[14:15], s[14:15], v[74:75]
	v_fma_f64 v[14:15], v[14:15], s[8:9], v[74:75]
	ds_store_b128 v122, v[52:55]
	ds_store_b128 v122, v[8:11] offset:352
	ds_store_b128 v122, v[12:15] offset:704
	global_wb scope:SCOPE_SE
	s_wait_dscnt 0x0
	s_barrier_signal -1
	s_barrier_wait -1
	global_inv scope:SCOPE_SE
	s_clause 0x1
	global_load_b128 v[138:141], v[5:6], off offset:880
	global_load_b128 v[142:145], v[5:6], off offset:896
	ds_load_b128 v[0:3], v96 offset:5280
	ds_load_b128 v[7:10], v96 offset:3520
	s_mov_b32 s8, 0x4755a5e
	s_mov_b32 s9, 0x3fe2cf23
	s_mov_b32 s15, 0xbfe2cf23
	s_wait_alu 0xfffe
	s_mov_b32 s14, s8
	s_wait_loadcnt_dscnt 0x101
	v_mul_f64_e32 v[11:12], v[2:3], v[140:141]
	s_delay_alu instid0(VALU_DEP_1) | instskip(SKIP_1) | instid1(VALU_DEP_1)
	v_fma_f64 v[27:28], v[0:1], v[138:139], -v[11:12]
	v_mul_f64_e32 v[0:1], v[0:1], v[140:141]
	v_fma_f64 v[29:30], v[2:3], v[138:139], v[0:1]
	ds_load_b128 v[0:3], v96 offset:10560
	ds_load_b128 v[11:14], v96 offset:12320
	s_clause 0x1
	global_load_b128 v[156:159], v[5:6], off offset:928
	global_load_b128 v[160:163], v[5:6], off offset:912
	s_wait_loadcnt_dscnt 0x201
	v_mul_f64_e32 v[15:16], v[2:3], v[144:145]
	s_delay_alu instid0(VALU_DEP_1) | instskip(SKIP_1) | instid1(VALU_DEP_1)
	v_fma_f64 v[31:32], v[0:1], v[142:143], -v[15:16]
	v_mul_f64_e32 v[0:1], v[0:1], v[144:145]
	v_fma_f64 v[33:34], v[2:3], v[142:143], v[0:1]
	ds_load_b128 v[0:3], v96 offset:21120
	ds_load_b128 v[15:18], v96 offset:22880
	s_wait_loadcnt_dscnt 0x101
	v_mul_f64_e32 v[5:6], v[0:1], v[158:159]
	s_delay_alu instid0(VALU_DEP_1) | instskip(SKIP_1) | instid1(VALU_DEP_2)
	v_fma_f64 v[5:6], v[2:3], v[156:157], v[5:6]
	v_mul_f64_e32 v[2:3], v[2:3], v[158:159]
	v_add_f64_e64 v[74:75], v[29:30], -v[5:6]
	s_delay_alu instid0(VALU_DEP_2)
	v_fma_f64 v[35:36], v[0:1], v[156:157], -v[2:3]
	ds_load_b128 v[0:3], v96 offset:15840
	ds_load_b128 v[19:22], v96 offset:14080
	s_wait_loadcnt_dscnt 0x1
	v_mul_f64_e32 v[23:24], v[2:3], v[162:163]
	v_add_f64_e64 v[78:79], v[27:28], -v[35:36]
	s_delay_alu instid0(VALU_DEP_2) | instskip(SKIP_1) | instid1(VALU_DEP_2)
	v_fma_f64 v[37:38], v[0:1], v[160:161], -v[23:24]
	v_mul_f64_e32 v[0:1], v[0:1], v[162:163]
	v_add_f64_e64 v[80:81], v[31:32], -v[37:38]
	s_delay_alu instid0(VALU_DEP_2) | instskip(SKIP_1) | instid1(VALU_DEP_1)
	v_fma_f64 v[39:40], v[2:3], v[160:161], v[0:1]
	v_mul_lo_u16 v0, 0xf9, v44
	v_lshrrev_b16 v84, 14, v0
	s_delay_alu instid0(VALU_DEP_1) | instskip(NEXT) | instid1(VALU_DEP_1)
	v_mul_lo_u16 v0, 0x42, v84
	v_sub_nc_u16 v0, v208, v0
	s_delay_alu instid0(VALU_DEP_1) | instskip(NEXT) | instid1(VALU_DEP_1)
	v_and_b32_e32 v85, 0xff, v0
	v_lshlrev_b32_e32 v50, 6, v85
	s_clause 0x1
	global_load_b128 v[168:171], v50, s[2:3] offset:880
	global_load_b128 v[164:167], v50, s[2:3] offset:896
	ds_load_b128 v[0:3], v96 offset:7040
	ds_load_b128 v[23:26], v96 offset:8800
	s_clause 0x1
	global_load_b128 v[176:179], v50, s[2:3] offset:912
	global_load_b128 v[172:175], v50, s[2:3] offset:928
	v_add_f64_e64 v[76:77], v[33:34], -v[39:40]
	s_wait_loadcnt_dscnt 0x301
	v_mul_f64_e32 v[41:42], v[2:3], v[170:171]
	s_delay_alu instid0(VALU_DEP_1) | instskip(SKIP_1) | instid1(VALU_DEP_1)
	v_fma_f64 v[41:42], v[0:1], v[168:169], -v[41:42]
	v_mul_f64_e32 v[0:1], v[0:1], v[170:171]
	v_fma_f64 v[43:44], v[2:3], v[168:169], v[0:1]
	s_wait_loadcnt 0x2
	v_mul_f64_e32 v[0:1], v[13:14], v[166:167]
	s_delay_alu instid0(VALU_DEP_1) | instskip(SKIP_1) | instid1(VALU_DEP_1)
	v_fma_f64 v[46:47], v[11:12], v[164:165], -v[0:1]
	v_mul_f64_e32 v[0:1], v[11:12], v[166:167]
	v_fma_f64 v[48:49], v[13:14], v[164:165], v[0:1]
	ds_load_b128 v[0:3], v96 offset:17600
	ds_load_b128 v[11:14], v96 offset:19360
	s_wait_loadcnt_dscnt 0x101
	v_mul_f64_e32 v[50:51], v[2:3], v[178:179]
	s_delay_alu instid0(VALU_DEP_1) | instskip(SKIP_1) | instid1(VALU_DEP_1)
	v_fma_f64 v[50:51], v[0:1], v[176:177], -v[50:51]
	v_mul_f64_e32 v[0:1], v[0:1], v[178:179]
	v_fma_f64 v[52:53], v[2:3], v[176:177], v[0:1]
	s_wait_loadcnt 0x0
	v_mul_f64_e32 v[0:1], v[17:18], v[174:175]
	s_delay_alu instid0(VALU_DEP_1) | instskip(SKIP_2) | instid1(VALU_DEP_2)
	v_fma_f64 v[54:55], v[15:16], v[172:173], -v[0:1]
	v_mul_f64_e32 v[0:1], v[15:16], v[174:175]
	v_add_f64_e32 v[15:16], v[31:32], v[37:38]
	v_fma_f64 v[56:57], v[17:18], v[172:173], v[0:1]
	v_mul_u32_u24_e32 v0, 0xf83f, v45
	s_delay_alu instid0(VALU_DEP_1) | instskip(NEXT) | instid1(VALU_DEP_1)
	v_lshrrev_b32_e32 v86, 22, v0
	v_mul_lo_u16 v0, 0x42, v86
	s_delay_alu instid0(VALU_DEP_1) | instskip(NEXT) | instid1(VALU_DEP_1)
	v_sub_nc_u16 v87, v224, v0
	v_lshlrev_b16 v0, 6, v87
	s_delay_alu instid0(VALU_DEP_1) | instskip(NEXT) | instid1(VALU_DEP_1)
	v_and_b32_e32 v0, 0xffff, v0
	v_add_co_u32 v0, s1, s2, v0
	s_wait_alu 0xf1ff
	v_add_co_ci_u32_e64 v1, null, s3, 0, s1
	s_clause 0x3
	global_load_b128 v[188:191], v[0:1], off offset:880
	global_load_b128 v[184:187], v[0:1], off offset:896
	;; [unrolled: 1-line block ×4, first 2 shown]
	v_cmp_lt_u16_e64 s1, 0x41, v200
	s_wait_loadcnt 0x3
	v_mul_f64_e32 v[2:3], v[25:26], v[190:191]
	s_wait_loadcnt_dscnt 0x100
	v_mul_f64_e32 v[0:1], v[13:14], v[198:199]
	s_delay_alu instid0(VALU_DEP_2) | instskip(SKIP_1) | instid1(VALU_DEP_3)
	v_fma_f64 v[58:59], v[23:24], v[188:189], -v[2:3]
	v_mul_f64_e32 v[2:3], v[23:24], v[190:191]
	v_fma_f64 v[66:67], v[11:12], v[196:197], -v[0:1]
	v_mul_f64_e32 v[0:1], v[11:12], v[198:199]
	s_delay_alu instid0(VALU_DEP_3) | instskip(SKIP_1) | instid1(VALU_DEP_3)
	v_fma_f64 v[60:61], v[25:26], v[188:189], v[2:3]
	v_mul_f64_e32 v[2:3], v[21:22], v[186:187]
	v_fma_f64 v[68:69], v[13:14], v[196:197], v[0:1]
	s_delay_alu instid0(VALU_DEP_2) | instskip(SKIP_1) | instid1(VALU_DEP_1)
	v_fma_f64 v[62:63], v[19:20], v[184:185], -v[2:3]
	v_mul_f64_e32 v[2:3], v[19:20], v[186:187]
	v_fma_f64 v[64:65], v[21:22], v[184:185], v[2:3]
	ds_load_b128 v[0:3], v96 offset:24640
	s_wait_loadcnt_dscnt 0x0
	v_mul_f64_e32 v[11:12], v[2:3], v[194:195]
	s_delay_alu instid0(VALU_DEP_1) | instskip(SKIP_1) | instid1(VALU_DEP_1)
	v_fma_f64 v[70:71], v[0:1], v[192:193], -v[11:12]
	v_mul_f64_e32 v[0:1], v[0:1], v[194:195]
	v_fma_f64 v[72:73], v[2:3], v[192:193], v[0:1]
	v_add_f64_e64 v[0:1], v[27:28], -v[31:32]
	v_add_f64_e64 v[2:3], v[35:36], -v[37:38]
	s_delay_alu instid0(VALU_DEP_1) | instskip(SKIP_2) | instid1(VALU_DEP_1)
	v_add_f64_e32 v[19:20], v[0:1], v[2:3]
	v_add_f64_e64 v[0:1], v[29:30], -v[33:34]
	v_add_f64_e64 v[2:3], v[5:6], -v[39:40]
	v_add_f64_e32 v[21:22], v[0:1], v[2:3]
	ds_load_b128 v[0:3], v96
	ds_load_b128 v[11:14], v96 offset:1760
	global_wb scope:SCOPE_SE
	s_wait_dscnt 0x0
	s_barrier_signal -1
	s_barrier_wait -1
	global_inv scope:SCOPE_SE
	v_fma_f64 v[23:24], v[15:16], -0.5, v[0:1]
	v_add_f64_e32 v[15:16], v[33:34], v[39:40]
	s_delay_alu instid0(VALU_DEP_1) | instskip(NEXT) | instid1(VALU_DEP_3)
	v_fma_f64 v[25:26], v[15:16], -0.5, v[2:3]
	v_fma_f64 v[15:16], v[74:75], s[16:17], v[23:24]
	v_fma_f64 v[23:24], v[74:75], s[18:19], v[23:24]
	s_delay_alu instid0(VALU_DEP_3) | instskip(SKIP_1) | instid1(VALU_DEP_4)
	v_fma_f64 v[17:18], v[78:79], s[18:19], v[25:26]
	v_fma_f64 v[25:26], v[78:79], s[16:17], v[25:26]
	;; [unrolled: 1-line block ×3, first 2 shown]
	s_wait_alu 0xfffe
	s_delay_alu instid0(VALU_DEP_4) | instskip(NEXT) | instid1(VALU_DEP_4)
	v_fma_f64 v[23:24], v[76:77], s[14:15], v[23:24]
	v_fma_f64 v[17:18], v[80:81], s[14:15], v[17:18]
	s_delay_alu instid0(VALU_DEP_4) | instskip(NEXT) | instid1(VALU_DEP_4)
	v_fma_f64 v[25:26], v[80:81], s[8:9], v[25:26]
	v_fma_f64 v[15:16], v[19:20], s[20:21], v[15:16]
	s_delay_alu instid0(VALU_DEP_4) | instskip(SKIP_4) | instid1(VALU_DEP_4)
	v_fma_f64 v[19:20], v[19:20], s[20:21], v[23:24]
	v_add_f64_e32 v[23:24], v[27:28], v[35:36]
	v_fma_f64 v[17:18], v[21:22], s[20:21], v[17:18]
	v_fma_f64 v[21:22], v[21:22], s[20:21], v[25:26]
	v_add_f64_e32 v[25:26], v[29:30], v[5:6]
	v_fma_f64 v[23:24], v[23:24], -0.5, v[0:1]
	v_add_f64_e32 v[0:1], v[0:1], v[27:28]
	v_add_f64_e64 v[27:28], v[31:32], -v[27:28]
	s_delay_alu instid0(VALU_DEP_4) | instskip(SKIP_4) | instid1(VALU_DEP_4)
	v_fma_f64 v[25:26], v[25:26], -0.5, v[2:3]
	v_add_f64_e32 v[2:3], v[2:3], v[29:30]
	v_add_f64_e64 v[29:30], v[33:34], -v[29:30]
	v_add_f64_e32 v[0:1], v[0:1], v[31:32]
	v_add_f64_e64 v[31:32], v[37:38], -v[35:36]
	v_add_f64_e32 v[2:3], v[2:3], v[33:34]
	v_fma_f64 v[33:34], v[76:77], s[18:19], v[23:24]
	s_delay_alu instid0(VALU_DEP_4)
	v_add_f64_e32 v[0:1], v[0:1], v[37:38]
	v_fma_f64 v[23:24], v[76:77], s[16:17], v[23:24]
	v_add_f64_e32 v[27:28], v[27:28], v[31:32]
	v_add_f64_e64 v[76:77], v[48:49], -v[52:53]
	v_add_f64_e32 v[2:3], v[2:3], v[39:40]
	v_add_f64_e32 v[0:1], v[0:1], v[35:36]
	v_fma_f64 v[35:36], v[80:81], s[16:17], v[25:26]
	v_fma_f64 v[25:26], v[80:81], s[18:19], v[25:26]
	;; [unrolled: 1-line block ×3, first 2 shown]
	v_add_f64_e64 v[80:81], v[46:47], -v[50:51]
	v_add_f64_e32 v[2:3], v[2:3], v[5:6]
	v_add_f64_e64 v[5:6], v[39:40], -v[5:6]
	s_delay_alu instid0(VALU_DEP_1)
	v_add_f64_e32 v[5:6], v[29:30], v[5:6]
	v_fma_f64 v[29:30], v[74:75], s[8:9], v[33:34]
	v_fma_f64 v[33:34], v[78:79], s[14:15], v[35:36]
	;; [unrolled: 1-line block ×3, first 2 shown]
	v_add_f64_e64 v[74:75], v[43:44], -v[56:57]
	v_add_f64_e64 v[78:79], v[41:42], -v[54:55]
	v_fma_f64 v[23:24], v[27:28], s[20:21], v[29:30]
	v_fma_f64 v[25:26], v[5:6], s[20:21], v[33:34]
	;; [unrolled: 1-line block ×4, first 2 shown]
	v_add_f64_e64 v[5:6], v[41:42], -v[46:47]
	v_add_f64_e64 v[31:32], v[54:55], -v[50:51]
	;; [unrolled: 1-line block ×3, first 2 shown]
	s_delay_alu instid0(VALU_DEP_2) | instskip(SKIP_1) | instid1(VALU_DEP_1)
	v_add_f64_e32 v[5:6], v[5:6], v[31:32]
	v_add_f64_e64 v[31:32], v[43:44], -v[48:49]
	v_add_f64_e32 v[37:38], v[31:32], v[33:34]
	v_add_f64_e32 v[31:32], v[46:47], v[50:51]
	s_delay_alu instid0(VALU_DEP_1) | instskip(SKIP_1) | instid1(VALU_DEP_1)
	v_fma_f64 v[35:36], v[31:32], -0.5, v[11:12]
	v_add_f64_e32 v[31:32], v[48:49], v[52:53]
	v_fma_f64 v[39:40], v[31:32], -0.5, v[13:14]
	s_delay_alu instid0(VALU_DEP_3) | instskip(SKIP_1) | instid1(VALU_DEP_3)
	v_fma_f64 v[31:32], v[74:75], s[16:17], v[35:36]
	v_fma_f64 v[35:36], v[74:75], s[18:19], v[35:36]
	;; [unrolled: 1-line block ×4, first 2 shown]
	s_delay_alu instid0(VALU_DEP_4) | instskip(NEXT) | instid1(VALU_DEP_4)
	v_fma_f64 v[31:32], v[76:77], s[8:9], v[31:32]
	v_fma_f64 v[35:36], v[76:77], s[14:15], v[35:36]
	s_delay_alu instid0(VALU_DEP_4) | instskip(NEXT) | instid1(VALU_DEP_4)
	v_fma_f64 v[33:34], v[80:81], s[14:15], v[33:34]
	v_fma_f64 v[39:40], v[80:81], s[8:9], v[39:40]
	;; [unrolled: 3-line block ×3, first 2 shown]
	v_add_f64_e32 v[5:6], v[41:42], v[54:55]
	v_fma_f64 v[33:34], v[37:38], s[20:21], v[33:34]
	v_fma_f64 v[37:38], v[37:38], s[20:21], v[39:40]
	v_add_f64_e32 v[39:40], v[43:44], v[56:57]
	s_delay_alu instid0(VALU_DEP_4) | instskip(SKIP_2) | instid1(VALU_DEP_4)
	v_fma_f64 v[5:6], v[5:6], -0.5, v[11:12]
	v_add_f64_e32 v[11:12], v[11:12], v[41:42]
	v_add_f64_e64 v[41:42], v[46:47], -v[41:42]
	v_fma_f64 v[39:40], v[39:40], -0.5, v[13:14]
	v_add_f64_e32 v[13:14], v[13:14], v[43:44]
	v_add_f64_e64 v[43:44], v[48:49], -v[43:44]
	v_add_f64_e32 v[11:12], v[11:12], v[46:47]
	v_add_f64_e64 v[45:46], v[50:51], -v[54:55]
	s_delay_alu instid0(VALU_DEP_4) | instskip(SKIP_1) | instid1(VALU_DEP_4)
	v_add_f64_e32 v[13:14], v[13:14], v[48:49]
	v_add_f64_e64 v[47:48], v[52:53], -v[56:57]
	v_add_f64_e32 v[11:12], v[11:12], v[50:51]
	v_fma_f64 v[49:50], v[76:77], s[18:19], v[5:6]
	v_fma_f64 v[5:6], v[76:77], s[16:17], v[5:6]
	v_add_f64_e32 v[45:46], v[41:42], v[45:46]
	v_add_f64_e64 v[76:77], v[60:61], -v[72:73]
	v_add_f64_e32 v[13:14], v[13:14], v[52:53]
	v_fma_f64 v[51:52], v[80:81], s[16:17], v[39:40]
	v_fma_f64 v[39:40], v[80:81], s[18:19], v[39:40]
	v_add_f64_e32 v[47:48], v[43:44], v[47:48]
	v_fma_f64 v[41:42], v[74:75], s[8:9], v[49:50]
	v_fma_f64 v[5:6], v[74:75], s[14:15], v[5:6]
	v_add_f64_e32 v[11:12], v[11:12], v[54:55]
	v_add_f64_e64 v[74:75], v[64:65], -v[68:69]
	v_add_f64_e64 v[80:81], v[58:59], -v[70:71]
	v_add_f64_e32 v[13:14], v[13:14], v[56:57]
	v_fma_f64 v[43:44], v[78:79], s[14:15], v[51:52]
	v_fma_f64 v[49:50], v[78:79], s[8:9], v[39:40]
	v_add_f64_e64 v[78:79], v[62:63], -v[66:67]
	v_fma_f64 v[39:40], v[45:46], s[20:21], v[41:42]
	s_delay_alu instid0(VALU_DEP_4)
	v_fma_f64 v[41:42], v[47:48], s[20:21], v[43:44]
	v_fma_f64 v[43:44], v[45:46], s[20:21], v[5:6]
	;; [unrolled: 1-line block ×3, first 2 shown]
	v_add_f64_e64 v[5:6], v[62:63], -v[58:59]
	v_add_f64_e64 v[47:48], v[66:67], -v[70:71]
	;; [unrolled: 1-line block ×3, first 2 shown]
	s_delay_alu instid0(VALU_DEP_2) | instskip(SKIP_1) | instid1(VALU_DEP_1)
	v_add_f64_e32 v[5:6], v[5:6], v[47:48]
	v_add_f64_e64 v[47:48], v[64:65], -v[60:61]
	v_add_f64_e32 v[53:54], v[47:48], v[49:50]
	v_add_f64_e32 v[47:48], v[58:59], v[70:71]
	s_delay_alu instid0(VALU_DEP_1) | instskip(SKIP_1) | instid1(VALU_DEP_1)
	v_fma_f64 v[51:52], v[47:48], -0.5, v[7:8]
	v_add_f64_e32 v[47:48], v[60:61], v[72:73]
	v_fma_f64 v[55:56], v[47:48], -0.5, v[9:10]
	s_delay_alu instid0(VALU_DEP_3) | instskip(SKIP_1) | instid1(VALU_DEP_3)
	v_fma_f64 v[47:48], v[74:75], s[18:19], v[51:52]
	v_fma_f64 v[51:52], v[74:75], s[16:17], v[51:52]
	;; [unrolled: 1-line block ×3, first 2 shown]
	s_delay_alu instid0(VALU_DEP_3) | instskip(SKIP_1) | instid1(VALU_DEP_4)
	v_fma_f64 v[47:48], v[76:77], s[8:9], v[47:48]
	v_fma_f64 v[55:56], v[78:79], s[18:19], v[55:56]
	;; [unrolled: 1-line block ×3, first 2 shown]
	s_delay_alu instid0(VALU_DEP_4) | instskip(NEXT) | instid1(VALU_DEP_4)
	v_fma_f64 v[49:50], v[80:81], s[14:15], v[49:50]
	v_fma_f64 v[47:48], v[5:6], s[20:21], v[47:48]
	s_delay_alu instid0(VALU_DEP_4) | instskip(NEXT) | instid1(VALU_DEP_4)
	v_fma_f64 v[55:56], v[80:81], s[8:9], v[55:56]
	v_fma_f64 v[51:52], v[5:6], s[20:21], v[51:52]
	v_add_f64_e32 v[5:6], v[62:63], v[66:67]
	v_fma_f64 v[49:50], v[53:54], s[20:21], v[49:50]
	s_delay_alu instid0(VALU_DEP_4) | instskip(NEXT) | instid1(VALU_DEP_3)
	v_fma_f64 v[53:54], v[53:54], s[20:21], v[55:56]
	v_fma_f64 v[55:56], v[5:6], -0.5, v[7:8]
	v_add_f64_e32 v[5:6], v[64:65], v[68:69]
	s_delay_alu instid0(VALU_DEP_1)
	v_fma_f64 v[82:83], v[5:6], -0.5, v[9:10]
	v_add_f64_e32 v[5:6], v[7:8], v[58:59]
	v_add_f64_e32 v[7:8], v[9:10], v[60:61]
	v_add_f64_e64 v[9:10], v[58:59], -v[62:63]
	v_add_f64_e64 v[57:58], v[60:61], -v[64:65]
	v_add_f64_e64 v[59:60], v[70:71], -v[66:67]
	v_add_f64_e32 v[5:6], v[5:6], v[62:63]
	v_add_f64_e32 v[7:8], v[7:8], v[64:65]
	v_add_f64_e64 v[61:62], v[72:73], -v[68:69]
	v_fma_f64 v[63:64], v[76:77], s[16:17], v[55:56]
	v_fma_f64 v[55:56], v[76:77], s[18:19], v[55:56]
	v_add_f64_e32 v[9:10], v[9:10], v[59:60]
	v_add_f64_e32 v[5:6], v[5:6], v[66:67]
	v_fma_f64 v[65:66], v[80:81], s[18:19], v[82:83]
	v_add_f64_e32 v[7:8], v[7:8], v[68:69]
	v_fma_f64 v[67:68], v[80:81], s[16:17], v[82:83]
	;; [unrolled: 2-line block ×3, first 2 shown]
	v_fma_f64 v[59:60], v[74:75], s[14:15], v[55:56]
	v_add_f64_e32 v[5:6], v[5:6], v[70:71]
	v_fma_f64 v[63:64], v[78:79], s[14:15], v[65:66]
	v_add_f64_e32 v[7:8], v[7:8], v[72:73]
	v_fma_f64 v[65:66], v[78:79], s[8:9], v[67:68]
	v_fma_f64 v[55:56], v[9:10], s[20:21], v[57:58]
	;; [unrolled: 1-line block ×3, first 2 shown]
	s_wait_alu 0xf1ff
	v_cndmask_b32_e64 v9, 0, 0x14a, s1
	s_delay_alu instid0(VALU_DEP_1)
	v_add_lshl_u32 v155, v4, v9, 4
	ds_store_b128 v155, v[0:3]
	ds_store_b128 v155, v[15:18] offset:1056
	ds_store_b128 v155, v[23:26] offset:2112
	;; [unrolled: 1-line block ×4, first 2 shown]
	v_and_b32_e32 v0, 0xffff, v84
	v_lshlrev_b32_e32 v4, 6, v200
	s_delay_alu instid0(VALU_DEP_2) | instskip(NEXT) | instid1(VALU_DEP_1)
	v_mul_u32_u24_e32 v0, 0x14a, v0
	v_add_lshl_u32 v154, v0, v85, 4
	v_mad_u16 v0, 0x14a, v86, v87
	ds_store_b128 v154, v[11:14]
	ds_store_b128 v154, v[31:34] offset:1056
	ds_store_b128 v154, v[39:42] offset:2112
	;; [unrolled: 1-line block ×4, first 2 shown]
	v_and_b32_e32 v0, 0xffff, v0
	v_fma_f64 v[57:58], v[61:62], s[20:21], v[63:64]
	s_delay_alu instid0(VALU_DEP_2)
	v_lshlrev_b32_e32 v153, 4, v0
	v_fma_f64 v[61:62], v[61:62], s[20:21], v[65:66]
	ds_store_b128 v153, v[5:8]
	ds_store_b128 v153, v[55:58] offset:1056
	ds_store_b128 v153, v[47:50] offset:2112
	;; [unrolled: 1-line block ×4, first 2 shown]
	global_wb scope:SCOPE_SE
	s_wait_dscnt 0x0
	s_barrier_signal -1
	s_barrier_wait -1
	global_inv scope:SCOPE_SE
	scratch_store_b32 off, v200, off offset:200 ; 4-byte Folded Spill
	s_clause 0x1
	global_load_b128 v[11:14], v4, s[2:3] offset:5104
	global_load_b128 v[180:183], v4, s[2:3] offset:5120
	ds_load_b128 v[0:3], v96 offset:5280
	ds_load_b128 v[5:8], v96 offset:3520
	s_wait_loadcnt_dscnt 0x101
	v_mul_f64_e32 v[9:10], v[2:3], v[13:14]
	scratch_store_b128 off, v[11:14], off offset:532 ; 16-byte Folded Spill
	v_fma_f64 v[25:26], v[0:1], v[11:12], -v[9:10]
	v_mul_f64_e32 v[0:1], v[0:1], v[13:14]
	s_delay_alu instid0(VALU_DEP_1)
	v_fma_f64 v[27:28], v[2:3], v[11:12], v[0:1]
	ds_load_b128 v[0:3], v96 offset:10560
	ds_load_b128 v[9:12], v96 offset:12320
	s_clause 0x1
	global_load_b128 v[204:207], v4, s[2:3] offset:5136
	global_load_b128 v[200:203], v4, s[2:3] offset:5152
	v_lshlrev_b32_e32 v4, 6, v208
	s_wait_loadcnt_dscnt 0x201
	v_mul_f64_e32 v[13:14], v[2:3], v[182:183]
	s_delay_alu instid0(VALU_DEP_1) | instskip(SKIP_1) | instid1(VALU_DEP_1)
	v_fma_f64 v[29:30], v[0:1], v[180:181], -v[13:14]
	v_mul_f64_e32 v[0:1], v[0:1], v[182:183]
	v_fma_f64 v[31:32], v[2:3], v[180:181], v[0:1]
	ds_load_b128 v[0:3], v96 offset:15840
	ds_load_b128 v[13:16], v96 offset:14080
	s_wait_loadcnt_dscnt 0x101
	v_mul_f64_e32 v[17:18], v[2:3], v[206:207]
	s_delay_alu instid0(VALU_DEP_1) | instskip(SKIP_1) | instid1(VALU_DEP_2)
	v_fma_f64 v[33:34], v[0:1], v[204:205], -v[17:18]
	v_mul_f64_e32 v[0:1], v[0:1], v[206:207]
	v_add_f64_e64 v[79:80], v[29:30], -v[33:34]
	s_delay_alu instid0(VALU_DEP_2)
	v_fma_f64 v[35:36], v[2:3], v[204:205], v[0:1]
	ds_load_b128 v[0:3], v96 offset:21120
	ds_load_b128 v[17:20], v96 offset:22880
	s_clause 0x1
	global_load_b128 v[212:215], v4, s[2:3] offset:5104
	global_load_b128 v[208:211], v4, s[2:3] offset:5120
	s_wait_loadcnt_dscnt 0x201
	v_mul_f64_e32 v[21:22], v[2:3], v[202:203]
	v_add_f64_e64 v[75:76], v[31:32], -v[35:36]
	s_delay_alu instid0(VALU_DEP_2) | instskip(SKIP_1) | instid1(VALU_DEP_2)
	v_fma_f64 v[37:38], v[0:1], v[200:201], -v[21:22]
	v_mul_f64_e32 v[0:1], v[0:1], v[202:203]
	v_add_f64_e64 v[77:78], v[25:26], -v[37:38]
	s_delay_alu instid0(VALU_DEP_2)
	v_fma_f64 v[39:40], v[2:3], v[200:201], v[0:1]
	ds_load_b128 v[0:3], v96 offset:7040
	ds_load_b128 v[21:24], v96 offset:8800
	s_clause 0x1
	global_load_b128 v[220:223], v4, s[2:3] offset:5136
	global_load_b128 v[216:219], v4, s[2:3] offset:5152
	v_add_f64_e64 v[73:74], v[27:28], -v[39:40]
	s_wait_loadcnt_dscnt 0x301
	v_mul_f64_e32 v[41:42], v[2:3], v[214:215]
	s_delay_alu instid0(VALU_DEP_1) | instskip(SKIP_1) | instid1(VALU_DEP_1)
	v_fma_f64 v[41:42], v[0:1], v[212:213], -v[41:42]
	v_mul_f64_e32 v[0:1], v[0:1], v[214:215]
	v_fma_f64 v[43:44], v[2:3], v[212:213], v[0:1]
	s_wait_loadcnt 0x2
	v_mul_f64_e32 v[0:1], v[11:12], v[210:211]
	s_delay_alu instid0(VALU_DEP_1) | instskip(SKIP_1) | instid1(VALU_DEP_1)
	v_fma_f64 v[45:46], v[9:10], v[208:209], -v[0:1]
	v_mul_f64_e32 v[0:1], v[9:10], v[210:211]
	v_fma_f64 v[47:48], v[11:12], v[208:209], v[0:1]
	ds_load_b128 v[0:3], v96 offset:17600
	ds_load_b128 v[9:12], v96 offset:19360
	s_wait_loadcnt_dscnt 0x101
	v_mul_f64_e32 v[49:50], v[2:3], v[222:223]
	s_delay_alu instid0(VALU_DEP_1) | instskip(SKIP_1) | instid1(VALU_DEP_1)
	v_fma_f64 v[49:50], v[0:1], v[220:221], -v[49:50]
	v_mul_f64_e32 v[0:1], v[0:1], v[222:223]
	v_fma_f64 v[51:52], v[2:3], v[220:221], v[0:1]
	s_wait_loadcnt 0x0
	v_mul_f64_e32 v[0:1], v[19:20], v[218:219]
	s_delay_alu instid0(VALU_DEP_1) | instskip(SKIP_1) | instid1(VALU_DEP_1)
	v_fma_f64 v[53:54], v[17:18], v[216:217], -v[0:1]
	v_mul_f64_e32 v[0:1], v[17:18], v[218:219]
	v_fma_f64 v[55:56], v[19:20], v[216:217], v[0:1]
	v_lshlrev_b64_e32 v[0:1], 6, v[224:225]
	s_delay_alu instid0(VALU_DEP_1) | instskip(SKIP_1) | instid1(VALU_DEP_2)
	v_add_co_u32 v0, s1, s2, v0
	s_wait_alu 0xf1ff
	v_add_co_ci_u32_e64 v1, s1, s3, v1, s1
	s_clause 0x3
	global_load_b128 v[228:231], v[0:1], off offset:5104
	global_load_b128 v[224:227], v[0:1], off offset:5120
	;; [unrolled: 1-line block ×4, first 2 shown]
	s_add_nc_u64 s[2:3], s[12:13], 0x6720
	s_wait_loadcnt 0x3
	v_mul_f64_e32 v[2:3], v[23:24], v[230:231]
	s_wait_loadcnt_dscnt 0x100
	v_mul_f64_e32 v[0:1], v[11:12], v[238:239]
	s_delay_alu instid0(VALU_DEP_2) | instskip(SKIP_1) | instid1(VALU_DEP_3)
	v_fma_f64 v[57:58], v[21:22], v[228:229], -v[2:3]
	v_mul_f64_e32 v[2:3], v[21:22], v[230:231]
	v_fma_f64 v[65:66], v[9:10], v[236:237], -v[0:1]
	v_mul_f64_e32 v[0:1], v[9:10], v[238:239]
	s_delay_alu instid0(VALU_DEP_3) | instskip(SKIP_1) | instid1(VALU_DEP_3)
	v_fma_f64 v[59:60], v[23:24], v[228:229], v[2:3]
	v_mul_f64_e32 v[2:3], v[15:16], v[226:227]
	v_fma_f64 v[67:68], v[11:12], v[236:237], v[0:1]
	s_delay_alu instid0(VALU_DEP_2) | instskip(SKIP_2) | instid1(VALU_DEP_2)
	v_fma_f64 v[61:62], v[13:14], v[224:225], -v[2:3]
	v_mul_f64_e32 v[2:3], v[13:14], v[226:227]
	v_add_f64_e32 v[13:14], v[29:30], v[33:34]
	v_fma_f64 v[63:64], v[15:16], v[224:225], v[2:3]
	ds_load_b128 v[0:3], v96 offset:24640
	s_wait_loadcnt_dscnt 0x0
	v_mul_f64_e32 v[9:10], v[2:3], v[234:235]
	s_delay_alu instid0(VALU_DEP_1) | instskip(SKIP_1) | instid1(VALU_DEP_1)
	v_fma_f64 v[69:70], v[0:1], v[232:233], -v[9:10]
	v_mul_f64_e32 v[0:1], v[0:1], v[234:235]
	v_fma_f64 v[71:72], v[2:3], v[232:233], v[0:1]
	v_add_f64_e64 v[0:1], v[25:26], -v[29:30]
	v_add_f64_e64 v[2:3], v[37:38], -v[33:34]
	s_delay_alu instid0(VALU_DEP_1) | instskip(SKIP_2) | instid1(VALU_DEP_1)
	v_add_f64_e32 v[17:18], v[0:1], v[2:3]
	v_add_f64_e64 v[0:1], v[27:28], -v[31:32]
	v_add_f64_e64 v[2:3], v[39:40], -v[35:36]
	v_add_f64_e32 v[19:20], v[0:1], v[2:3]
	ds_load_b128 v[0:3], v96
	ds_load_b128 v[9:12], v96 offset:1760
	s_wait_dscnt 0x1
	v_fma_f64 v[21:22], v[13:14], -0.5, v[0:1]
	v_add_f64_e32 v[13:14], v[31:32], v[35:36]
	s_delay_alu instid0(VALU_DEP_1) | instskip(NEXT) | instid1(VALU_DEP_3)
	v_fma_f64 v[23:24], v[13:14], -0.5, v[2:3]
	v_fma_f64 v[13:14], v[73:74], s[16:17], v[21:22]
	v_fma_f64 v[21:22], v[73:74], s[18:19], v[21:22]
	s_delay_alu instid0(VALU_DEP_3) | instskip(NEXT) | instid1(VALU_DEP_3)
	v_fma_f64 v[15:16], v[77:78], s[18:19], v[23:24]
	v_fma_f64 v[13:14], v[75:76], s[8:9], v[13:14]
	;; [unrolled: 1-line block ×3, first 2 shown]
	s_delay_alu instid0(VALU_DEP_4) | instskip(NEXT) | instid1(VALU_DEP_4)
	v_fma_f64 v[21:22], v[75:76], s[14:15], v[21:22]
	v_fma_f64 v[15:16], v[79:80], s[14:15], v[15:16]
	s_delay_alu instid0(VALU_DEP_4) | instskip(NEXT) | instid1(VALU_DEP_4)
	v_fma_f64 v[13:14], v[17:18], s[20:21], v[13:14]
	v_fma_f64 v[23:24], v[79:80], s[8:9], v[23:24]
	s_delay_alu instid0(VALU_DEP_4) | instskip(SKIP_2) | instid1(VALU_DEP_4)
	v_fma_f64 v[17:18], v[17:18], s[20:21], v[21:22]
	v_add_f64_e32 v[21:22], v[25:26], v[37:38]
	v_fma_f64 v[15:16], v[19:20], s[20:21], v[15:16]
	v_fma_f64 v[19:20], v[19:20], s[20:21], v[23:24]
	v_add_f64_e32 v[23:24], v[27:28], v[39:40]
	s_delay_alu instid0(VALU_DEP_4) | instskip(SKIP_2) | instid1(VALU_DEP_4)
	v_fma_f64 v[21:22], v[21:22], -0.5, v[0:1]
	v_add_f64_e32 v[0:1], v[0:1], v[25:26]
	v_add_f64_e64 v[25:26], v[29:30], -v[25:26]
	v_fma_f64 v[23:24], v[23:24], -0.5, v[2:3]
	v_add_f64_e32 v[2:3], v[2:3], v[27:28]
	s_delay_alu instid0(VALU_DEP_4) | instskip(SKIP_2) | instid1(VALU_DEP_4)
	v_add_f64_e32 v[0:1], v[0:1], v[29:30]
	v_add_f64_e64 v[27:28], v[31:32], -v[27:28]
	v_add_f64_e64 v[29:30], v[33:34], -v[37:38]
	v_add_f64_e32 v[2:3], v[2:3], v[31:32]
	s_delay_alu instid0(VALU_DEP_4)
	v_add_f64_e32 v[0:1], v[0:1], v[33:34]
	v_add_f64_e64 v[31:32], v[35:36], -v[39:40]
	v_fma_f64 v[33:34], v[75:76], s[18:19], v[21:22]
	v_fma_f64 v[21:22], v[75:76], s[16:17], v[21:22]
	v_add_f64_e32 v[25:26], v[25:26], v[29:30]
	v_add_f64_e64 v[75:76], v[47:48], -v[51:52]
	v_add_f64_e32 v[2:3], v[2:3], v[35:36]
	v_fma_f64 v[35:36], v[79:80], s[16:17], v[23:24]
	v_add_f64_e32 v[27:28], v[27:28], v[31:32]
	v_fma_f64 v[29:30], v[73:74], s[8:9], v[33:34]
	v_fma_f64 v[31:32], v[73:74], s[14:15], v[21:22]
	;; [unrolled: 1-line block ×3, first 2 shown]
	v_add_f64_e32 v[0:1], v[0:1], v[37:38]
	v_add_f64_e64 v[73:74], v[43:44], -v[55:56]
	v_add_f64_e64 v[79:80], v[45:46], -v[49:50]
	v_add_f64_e32 v[2:3], v[2:3], v[39:40]
	v_fma_f64 v[33:34], v[77:78], s[14:15], v[35:36]
	v_fma_f64 v[21:22], v[25:26], s[20:21], v[29:30]
	;; [unrolled: 1-line block ×3, first 2 shown]
	v_add_f64_e64 v[29:30], v[41:42], -v[45:46]
	v_add_f64_e64 v[31:32], v[53:54], -v[49:50]
	v_fma_f64 v[35:36], v[77:78], s[8:9], v[23:24]
	v_add_f64_e64 v[77:78], v[41:42], -v[53:54]
	v_fma_f64 v[23:24], v[27:28], s[20:21], v[33:34]
	s_delay_alu instid0(VALU_DEP_4) | instskip(SKIP_3) | instid1(VALU_DEP_2)
	v_add_f64_e32 v[33:34], v[29:30], v[31:32]
	v_add_f64_e64 v[29:30], v[43:44], -v[47:48]
	v_add_f64_e64 v[31:32], v[55:56], -v[51:52]
	v_fma_f64 v[27:28], v[27:28], s[20:21], v[35:36]
	v_add_f64_e32 v[35:36], v[29:30], v[31:32]
	v_add_f64_e32 v[29:30], v[45:46], v[49:50]
	s_wait_dscnt 0x0
	s_delay_alu instid0(VALU_DEP_1) | instskip(SKIP_1) | instid1(VALU_DEP_1)
	v_fma_f64 v[37:38], v[29:30], -0.5, v[9:10]
	v_add_f64_e32 v[29:30], v[47:48], v[51:52]
	v_fma_f64 v[39:40], v[29:30], -0.5, v[11:12]
	s_delay_alu instid0(VALU_DEP_3) | instskip(SKIP_1) | instid1(VALU_DEP_3)
	v_fma_f64 v[29:30], v[73:74], s[16:17], v[37:38]
	v_fma_f64 v[37:38], v[73:74], s[18:19], v[37:38]
	;; [unrolled: 1-line block ×3, first 2 shown]
	s_delay_alu instid0(VALU_DEP_3) | instskip(SKIP_1) | instid1(VALU_DEP_4)
	v_fma_f64 v[29:30], v[75:76], s[8:9], v[29:30]
	v_fma_f64 v[39:40], v[77:78], s[16:17], v[39:40]
	;; [unrolled: 1-line block ×3, first 2 shown]
	s_delay_alu instid0(VALU_DEP_4) | instskip(NEXT) | instid1(VALU_DEP_4)
	v_fma_f64 v[31:32], v[79:80], s[14:15], v[31:32]
	v_fma_f64 v[29:30], v[33:34], s[20:21], v[29:30]
	s_delay_alu instid0(VALU_DEP_4) | instskip(NEXT) | instid1(VALU_DEP_4)
	v_fma_f64 v[39:40], v[79:80], s[8:9], v[39:40]
	v_fma_f64 v[33:34], v[33:34], s[20:21], v[37:38]
	v_add_f64_e32 v[37:38], v[41:42], v[53:54]
	v_fma_f64 v[31:32], v[35:36], s[20:21], v[31:32]
	s_delay_alu instid0(VALU_DEP_4) | instskip(SKIP_1) | instid1(VALU_DEP_4)
	v_fma_f64 v[35:36], v[35:36], s[20:21], v[39:40]
	v_add_f64_e32 v[39:40], v[43:44], v[55:56]
	v_fma_f64 v[37:38], v[37:38], -0.5, v[9:10]
	v_add_f64_e32 v[9:10], v[9:10], v[41:42]
	v_add_f64_e64 v[41:42], v[45:46], -v[41:42]
	s_delay_alu instid0(VALU_DEP_4) | instskip(SKIP_1) | instid1(VALU_DEP_4)
	v_fma_f64 v[39:40], v[39:40], -0.5, v[11:12]
	v_add_f64_e32 v[11:12], v[11:12], v[43:44]
	v_add_f64_e32 v[9:10], v[9:10], v[45:46]
	v_add_f64_e64 v[43:44], v[47:48], -v[43:44]
	v_add_f64_e64 v[45:46], v[49:50], -v[53:54]
	s_delay_alu instid0(VALU_DEP_4) | instskip(NEXT) | instid1(VALU_DEP_4)
	v_add_f64_e32 v[11:12], v[11:12], v[47:48]
	v_add_f64_e32 v[9:10], v[9:10], v[49:50]
	v_add_f64_e64 v[47:48], v[51:52], -v[55:56]
	v_fma_f64 v[49:50], v[75:76], s[18:19], v[37:38]
	v_fma_f64 v[37:38], v[75:76], s[16:17], v[37:38]
	v_add_f64_e32 v[41:42], v[41:42], v[45:46]
	v_add_f64_e64 v[75:76], v[61:62], -v[65:66]
	v_add_f64_e32 v[11:12], v[11:12], v[51:52]
	v_fma_f64 v[51:52], v[79:80], s[16:17], v[39:40]
	v_add_f64_e32 v[43:44], v[43:44], v[47:48]
	v_fma_f64 v[45:46], v[73:74], s[8:9], v[49:50]
	v_fma_f64 v[47:48], v[73:74], s[14:15], v[37:38]
	;; [unrolled: 1-line block ×3, first 2 shown]
	v_add_f64_e32 v[9:10], v[9:10], v[53:54]
	v_add_f64_e64 v[53:54], v[63:64], -v[67:68]
	v_add_f64_e32 v[11:12], v[11:12], v[55:56]
	v_fma_f64 v[49:50], v[77:78], s[14:15], v[51:52]
	v_add_f64_e64 v[55:56], v[59:60], -v[71:72]
	v_fma_f64 v[37:38], v[41:42], s[20:21], v[45:46]
	v_fma_f64 v[41:42], v[41:42], s[20:21], v[47:48]
	v_add_f64_e64 v[45:46], v[61:62], -v[57:58]
	v_add_f64_e64 v[47:48], v[65:66], -v[69:70]
	v_fma_f64 v[51:52], v[77:78], s[8:9], v[39:40]
	v_add_f64_e64 v[77:78], v[57:58], -v[69:70]
	v_fma_f64 v[39:40], v[43:44], s[20:21], v[49:50]
	v_add_f64_e64 v[49:50], v[67:68], -v[71:72]
	v_add_f64_e32 v[45:46], v[45:46], v[47:48]
	v_add_f64_e64 v[47:48], v[63:64], -v[59:60]
	v_fma_f64 v[43:44], v[43:44], s[20:21], v[51:52]
	v_add_f64_e32 v[51:52], v[59:60], v[71:72]
	s_delay_alu instid0(VALU_DEP_3) | instskip(SKIP_1) | instid1(VALU_DEP_3)
	v_add_f64_e32 v[47:48], v[47:48], v[49:50]
	v_add_f64_e32 v[49:50], v[57:58], v[69:70]
	v_fma_f64 v[51:52], v[51:52], -0.5, v[7:8]
	s_delay_alu instid0(VALU_DEP_2) | instskip(NEXT) | instid1(VALU_DEP_2)
	v_fma_f64 v[49:50], v[49:50], -0.5, v[5:6]
	v_fma_f64 v[79:80], v[75:76], s[16:17], v[51:52]
	v_fma_f64 v[51:52], v[75:76], s[18:19], v[51:52]
	s_delay_alu instid0(VALU_DEP_3) | instskip(SKIP_1) | instid1(VALU_DEP_4)
	v_fma_f64 v[73:74], v[53:54], s[18:19], v[49:50]
	v_fma_f64 v[49:50], v[53:54], s[16:17], v[49:50]
	;; [unrolled: 1-line block ×3, first 2 shown]
	s_delay_alu instid0(VALU_DEP_4) | instskip(NEXT) | instid1(VALU_DEP_4)
	v_fma_f64 v[51:52], v[77:78], s[8:9], v[51:52]
	v_fma_f64 v[73:74], v[55:56], s[8:9], v[73:74]
	s_delay_alu instid0(VALU_DEP_4) | instskip(NEXT) | instid1(VALU_DEP_4)
	v_fma_f64 v[49:50], v[55:56], s[14:15], v[49:50]
	v_fma_f64 v[246:247], v[47:48], s[20:21], v[79:80]
	s_delay_alu instid0(VALU_DEP_4)
	v_fma_f64 v[250:251], v[47:48], s[20:21], v[51:52]
	v_add_f64_e32 v[47:48], v[63:64], v[67:68]
	v_add_f64_e64 v[51:52], v[59:60], -v[63:64]
	v_fma_f64 v[244:245], v[45:46], s[20:21], v[73:74]
	v_fma_f64 v[248:249], v[45:46], s[20:21], v[49:50]
	v_add_f64_e32 v[45:46], v[61:62], v[65:66]
	v_add_f64_e64 v[49:50], v[57:58], -v[61:62]
	v_fma_f64 v[47:48], v[47:48], -0.5, v[7:8]
	s_delay_alu instid0(VALU_DEP_3) | instskip(SKIP_4) | instid1(VALU_DEP_4)
	v_fma_f64 v[45:46], v[45:46], -0.5, v[5:6]
	v_add_f64_e32 v[4:5], v[5:6], v[57:58]
	v_add_f64_e32 v[6:7], v[7:8], v[59:60]
	v_add_f64_e64 v[57:58], v[69:70], -v[65:66]
	v_add_f64_e64 v[59:60], v[71:72], -v[67:68]
	v_add_f64_e32 v[4:5], v[4:5], v[61:62]
	s_delay_alu instid0(VALU_DEP_4)
	v_add_f64_e32 v[6:7], v[6:7], v[63:64]
	v_fma_f64 v[61:62], v[55:56], s[16:17], v[45:46]
	v_fma_f64 v[45:46], v[55:56], s[18:19], v[45:46]
	;; [unrolled: 1-line block ×4, first 2 shown]
	v_add_f64_e32 v[49:50], v[49:50], v[57:58]
	v_add_f64_e32 v[51:52], v[51:52], v[59:60]
	;; [unrolled: 1-line block ×4, first 2 shown]
	v_fma_f64 v[57:58], v[53:54], s[8:9], v[61:62]
	v_fma_f64 v[45:46], v[53:54], s[14:15], v[45:46]
	v_fma_f64 v[53:54], v[75:76], s[14:15], v[55:56]
	v_fma_f64 v[47:48], v[75:76], s[8:9], v[47:48]
	v_add_f64_e32 v[4:5], v[4:5], v[69:70]
	v_add_f64_e32 v[6:7], v[6:7], v[71:72]
	v_fma_f64 v[240:241], v[49:50], s[20:21], v[57:58]
	v_fma_f64 v[252:253], v[49:50], s[20:21], v[45:46]
	;; [unrolled: 1-line block ×4, first 2 shown]
	ds_store_b128 v96, v[0:3]
	ds_store_b128 v96, v[9:12] offset:1760
	ds_store_b128 v96, v[21:24] offset:10560
	;; [unrolled: 1-line block ×14, first 2 shown]
	global_wb scope:SCOPE_SE
	s_wait_storecnt_dscnt 0x0
	s_barrier_signal -1
	s_barrier_wait -1
	global_inv scope:SCOPE_SE
	scratch_load_b64 v[0:1], off, off       ; 8-byte Folded Reload
	s_wait_loadcnt 0x0
	global_load_b128 v[0:3], v[0:1], off offset:26400
	ds_load_b128 v[4:7], v96
	ds_load_b128 v[8:11], v96 offset:2400
	ds_load_b128 v[16:19], v96 offset:24000
	s_wait_loadcnt_dscnt 0x2
	v_mul_f64_e32 v[12:13], v[6:7], v[2:3]
	v_mul_f64_e32 v[14:15], v[4:5], v[2:3]
	s_delay_alu instid0(VALU_DEP_2) | instskip(NEXT) | instid1(VALU_DEP_2)
	v_fma_f64 v[2:3], v[4:5], v[0:1], -v[12:13]
	v_fma_f64 v[4:5], v[6:7], v[0:1], v[14:15]
	global_load_b128 v[12:15], v96, s[2:3] offset:2400
	s_wait_loadcnt_dscnt 0x1
	v_mul_f64_e32 v[0:1], v[10:11], v[14:15]
	v_mul_f64_e32 v[14:15], v[8:9], v[14:15]
	s_delay_alu instid0(VALU_DEP_2) | instskip(NEXT) | instid1(VALU_DEP_2)
	v_fma_f64 v[6:7], v[8:9], v[12:13], -v[0:1]
	v_fma_f64 v[8:9], v[10:11], v[12:13], v[14:15]
	s_clause 0x1
	global_load_b128 v[10:13], v96, s[2:3] offset:4800
	global_load_b128 v[20:23], v96, s[2:3] offset:7200
	ds_load_b128 v[24:27], v96 offset:4800
	ds_load_b128 v[28:31], v96 offset:7200
	s_wait_loadcnt_dscnt 0x101
	v_mul_f64_e32 v[0:1], v[26:27], v[12:13]
	v_mul_f64_e32 v[14:15], v[24:25], v[12:13]
	s_delay_alu instid0(VALU_DEP_2) | instskip(NEXT) | instid1(VALU_DEP_2)
	v_fma_f64 v[12:13], v[24:25], v[10:11], -v[0:1]
	v_fma_f64 v[14:15], v[26:27], v[10:11], v[14:15]
	s_wait_loadcnt_dscnt 0x0
	v_mul_f64_e32 v[0:1], v[30:31], v[22:23]
	v_mul_f64_e32 v[10:11], v[28:29], v[22:23]
	s_delay_alu instid0(VALU_DEP_2) | instskip(NEXT) | instid1(VALU_DEP_2)
	v_fma_f64 v[22:23], v[28:29], v[20:21], -v[0:1]
	v_fma_f64 v[24:25], v[30:31], v[20:21], v[10:11]
	s_clause 0x1
	global_load_b128 v[26:29], v96, s[2:3] offset:9600
	global_load_b128 v[30:33], v96, s[2:3] offset:12000
	ds_load_b128 v[34:37], v96 offset:9600
	ds_load_b128 v[38:41], v96 offset:12000
	s_wait_loadcnt_dscnt 0x101
	v_mul_f64_e32 v[0:1], v[36:37], v[28:29]
	v_mul_f64_e32 v[10:11], v[34:35], v[28:29]
	s_delay_alu instid0(VALU_DEP_2) | instskip(NEXT) | instid1(VALU_DEP_2)
	v_fma_f64 v[34:35], v[34:35], v[26:27], -v[0:1]
	v_fma_f64 v[36:37], v[36:37], v[26:27], v[10:11]
	;; [unrolled: 17-line block ×4, first 2 shown]
	s_wait_loadcnt_dscnt 0x0
	v_mul_f64_e32 v[0:1], v[56:57], v[48:49]
	v_mul_f64_e32 v[10:11], v[54:55], v[48:49]
	s_delay_alu instid0(VALU_DEP_2) | instskip(NEXT) | instid1(VALU_DEP_2)
	v_fma_f64 v[38:39], v[54:55], v[46:47], -v[0:1]
	v_fma_f64 v[40:41], v[56:57], v[46:47], v[10:11]
	global_load_b128 v[46:49], v96, s[2:3] offset:24000
	s_wait_loadcnt 0x0
	v_mul_f64_e32 v[0:1], v[18:19], v[48:49]
	v_mul_f64_e32 v[10:11], v[16:17], v[48:49]
	s_delay_alu instid0(VALU_DEP_2) | instskip(NEXT) | instid1(VALU_DEP_2)
	v_fma_f64 v[16:17], v[16:17], v[46:47], -v[0:1]
	v_fma_f64 v[18:19], v[18:19], v[46:47], v[10:11]
	ds_store_b128 v96, v[2:5]
	ds_store_b128 v96, v[6:9] offset:2400
	ds_store_b128 v96, v[12:15] offset:4800
	;; [unrolled: 1-line block ×10, first 2 shown]
	s_and_saveexec_b32 s1, vcc_lo
	s_cbranch_execz .LBB0_13
; %bb.12:
	s_wait_alu 0xfffe
	v_add_co_u32 v40, s2, s2, v96
	s_wait_alu 0xf1ff
	v_add_co_ci_u32_e64 v41, null, s3, 0, s2
	s_clause 0xa
	global_load_b128 v[0:3], v[40:41], off offset:1760
	global_load_b128 v[4:7], v[40:41], off offset:4160
	;; [unrolled: 1-line block ×11, first 2 shown]
	ds_load_b128 v[44:47], v96 offset:1760
	ds_load_b128 v[48:51], v96 offset:4160
	;; [unrolled: 1-line block ×3, first 2 shown]
	s_wait_loadcnt_dscnt 0xa02
	v_mul_f64_e32 v[56:57], v[46:47], v[2:3]
	v_mul_f64_e32 v[2:3], v[44:45], v[2:3]
	s_wait_loadcnt_dscnt 0x901
	v_mul_f64_e32 v[58:59], v[50:51], v[6:7]
	v_mul_f64_e32 v[6:7], v[48:49], v[6:7]
	s_delay_alu instid0(VALU_DEP_4) | instskip(NEXT) | instid1(VALU_DEP_4)
	v_fma_f64 v[44:45], v[44:45], v[0:1], -v[56:57]
	v_fma_f64 v[46:47], v[46:47], v[0:1], v[2:3]
	ds_load_b128 v[0:3], v96 offset:8960
	s_wait_loadcnt_dscnt 0x801
	v_mul_f64_e32 v[56:57], v[54:55], v[10:11]
	v_mul_f64_e32 v[10:11], v[52:53], v[10:11]
	v_fma_f64 v[48:49], v[48:49], v[4:5], -v[58:59]
	v_fma_f64 v[50:51], v[50:51], v[4:5], v[6:7]
	ds_load_b128 v[4:7], v96 offset:11360
	s_wait_loadcnt_dscnt 0x701
	v_mul_f64_e32 v[58:59], v[2:3], v[14:15]
	v_mul_f64_e32 v[14:15], v[0:1], v[14:15]
	;; [unrolled: 6-line block ×8, first 2 shown]
	v_fma_f64 v[20:21], v[20:21], v[32:33], -v[56:57]
	v_fma_f64 v[22:23], v[22:23], v[32:33], v[34:35]
	s_wait_loadcnt_dscnt 0x0
	v_mul_f64_e32 v[32:33], v[30:31], v[42:43]
	v_mul_f64_e32 v[34:35], v[28:29], v[42:43]
	v_fma_f64 v[24:25], v[24:25], v[36:37], -v[58:59]
	v_fma_f64 v[26:27], v[26:27], v[36:37], v[38:39]
	s_delay_alu instid0(VALU_DEP_4) | instskip(NEXT) | instid1(VALU_DEP_4)
	v_fma_f64 v[28:29], v[28:29], v[40:41], -v[32:33]
	v_fma_f64 v[30:31], v[30:31], v[40:41], v[34:35]
	ds_store_b128 v96, v[44:47] offset:1760
	ds_store_b128 v96, v[48:51] offset:4160
	;; [unrolled: 1-line block ×11, first 2 shown]
.LBB0_13:
	s_wait_alu 0xfffe
	s_or_b32 exec_lo, exec_lo, s1
	global_wb scope:SCOPE_SE
	s_wait_dscnt 0x0
	s_barrier_signal -1
	s_barrier_wait -1
	global_inv scope:SCOPE_SE
	ds_load_b128 v[0:3], v96
	ds_load_b128 v[8:11], v96 offset:2400
	ds_load_b128 v[12:15], v96 offset:4800
	;; [unrolled: 1-line block ×10, first 2 shown]
	s_and_saveexec_b32 s1, vcc_lo
	s_cbranch_execz .LBB0_15
; %bb.14:
	ds_load_b128 v[240:243], v96 offset:1760
	ds_load_b128 v[244:247], v96 offset:4160
	;; [unrolled: 1-line block ×6, first 2 shown]
	s_wait_dscnt 0x0
	scratch_store_b128 off, v[44:47], off offset:88 ; 16-byte Folded Spill
	ds_load_b128 v[44:47], v96 offset:16160
	s_wait_dscnt 0x0
	scratch_store_b128 off, v[44:47], off offset:72 ; 16-byte Folded Spill
	ds_load_b128 v[44:47], v96 offset:18560
	;; [unrolled: 3-line block ×5, first 2 shown]
	s_wait_dscnt 0x0
	scratch_store_b128 off, v[44:47], off offset:8 ; 16-byte Folded Spill
.LBB0_15:
	s_wait_alu 0xfffe
	s_or_b32 exec_lo, exec_lo, s1
	s_wait_dscnt 0x9
	v_add_f64_e32 v[44:45], v[0:1], v[8:9]
	v_add_f64_e32 v[46:47], v[2:3], v[10:11]
	s_wait_dscnt 0x4
	v_add_f64_e32 v[48:49], v[42:43], v[38:39]
	v_add_f64_e32 v[50:51], v[40:41], v[36:37]
	s_wait_dscnt 0x3
	v_add_f64_e64 v[52:53], v[28:29], -v[32:33]
	s_wait_dscnt 0x2
	v_add_f64_e32 v[54:55], v[20:21], v[24:25]
	v_add_f64_e64 v[56:57], v[20:21], -v[24:25]
	s_wait_dscnt 0x1
	v_add_f64_e32 v[58:59], v[12:13], v[16:17]
	v_add_f64_e64 v[60:61], v[12:13], -v[16:17]
	s_mov_b32 s36, 0xf8bb580b
	s_mov_b32 s22, 0x8eee2c13
	;; [unrolled: 1-line block ×24, first 2 shown]
	s_wait_alu 0xfffe
	s_mov_b32 s26, s36
	s_mov_b32 s34, s22
	;; [unrolled: 1-line block ×5, first 2 shown]
	v_add_f64_e32 v[44:45], v[44:45], v[12:13]
	v_add_f64_e32 v[46:47], v[46:47], v[14:15]
	v_mul_f64_e32 v[102:103], s[12:13], v[48:49]
	global_wb scope:SCOPE_SE
	s_wait_storecnt_dscnt 0x0
	s_barrier_signal -1
	s_barrier_wait -1
	global_inv scope:SCOPE_SE
	v_add_f64_e32 v[44:45], v[44:45], v[20:21]
	v_add_f64_e32 v[46:47], v[46:47], v[22:23]
	s_delay_alu instid0(VALU_DEP_2) | instskip(NEXT) | instid1(VALU_DEP_2)
	v_add_f64_e32 v[44:45], v[44:45], v[28:29]
	v_add_f64_e32 v[46:47], v[46:47], v[30:31]
	s_delay_alu instid0(VALU_DEP_2) | instskip(NEXT) | instid1(VALU_DEP_2)
	v_add_f64_e32 v[44:45], v[44:45], v[40:41]
	v_add_f64_e32 v[46:47], v[46:47], v[42:43]
	v_add_f64_e64 v[42:43], v[42:43], -v[38:39]
	v_add_f64_e64 v[40:41], v[40:41], -v[36:37]
	s_delay_alu instid0(VALU_DEP_4) | instskip(NEXT) | instid1(VALU_DEP_4)
	v_add_f64_e32 v[36:37], v[44:45], v[36:37]
	v_add_f64_e32 v[38:39], v[46:47], v[38:39]
	;; [unrolled: 1-line block ×4, first 2 shown]
	v_add_f64_e64 v[28:29], v[30:31], -v[34:35]
	v_mul_f64_e32 v[100:101], s[2:3], v[42:43]
	v_add_f64_e32 v[30:31], v[36:37], v[32:33]
	v_add_f64_e32 v[32:33], v[38:39], v[34:35]
	;; [unrolled: 1-line block ×3, first 2 shown]
	v_add_f64_e64 v[36:37], v[22:23], -v[26:27]
	v_mul_f64_e32 v[92:93], s[14:15], v[28:29]
	v_mul_f64_e32 v[94:95], s[16:17], v[46:47]
	v_add_f64_e32 v[20:21], v[30:31], v[24:25]
	v_add_f64_e32 v[22:23], v[32:33], v[26:27]
	v_add_f64_e64 v[30:31], v[14:15], -v[18:19]
	v_add_f64_e32 v[32:33], v[14:15], v[18:19]
	v_mul_f64_e32 v[88:89], s[20:21], v[36:37]
	v_mul_f64_e32 v[90:91], s[18:19], v[34:35]
	v_add_f64_e32 v[12:13], v[20:21], v[16:17]
	v_add_f64_e32 v[14:15], v[22:23], v[18:19]
	v_add_f64_e64 v[16:17], v[10:11], -v[6:7]
	v_add_f64_e32 v[18:19], v[8:9], v[4:5]
	v_add_f64_e32 v[10:11], v[10:11], v[6:7]
	v_add_f64_e64 v[8:9], v[8:9], -v[4:5]
	v_mul_f64_e32 v[86:87], s[22:23], v[30:31]
	v_mul_f64_e32 v[97:98], s[24:25], v[32:33]
	v_add_f64_e32 v[4:5], v[12:13], v[4:5]
	v_add_f64_e32 v[6:7], v[14:15], v[6:7]
	v_mul_f64_e32 v[12:13], s[36:37], v[16:17]
	v_mul_f64_e32 v[14:15], s[22:23], v[16:17]
	;; [unrolled: 1-line block ×8, first 2 shown]
	v_fma_f64 v[24:25], v[18:19], s[8:9], v[12:13]
	v_fma_f64 v[12:13], v[18:19], s[8:9], -v[12:13]
	v_fma_f64 v[26:27], v[18:19], s[24:25], v[14:15]
	v_fma_f64 v[14:15], v[18:19], s[24:25], -v[14:15]
	;; [unrolled: 2-line block ×5, first 2 shown]
	v_mul_f64_e32 v[18:19], s[8:9], v[10:11]
	v_mul_f64_e32 v[10:11], s[12:13], v[10:11]
	s_wait_alu 0xfffe
	v_fma_f64 v[74:75], v[8:9], s[34:35], v[66:67]
	v_fma_f64 v[66:67], v[8:9], s[22:23], v[66:67]
	;; [unrolled: 1-line block ×6, first 2 shown]
	v_add_f64_e32 v[14:15], v[0:1], v[14:15]
	v_add_f64_e32 v[38:39], v[0:1], v[38:39]
	;; [unrolled: 1-line block ×5, first 2 shown]
	v_fma_f64 v[72:73], v[8:9], s[26:27], v[18:19]
	v_fma_f64 v[18:19], v[8:9], s[36:37], v[18:19]
	;; [unrolled: 1-line block ×4, first 2 shown]
	v_add_f64_e32 v[10:11], v[0:1], v[24:25]
	v_add_f64_e32 v[68:69], v[2:3], v[68:69]
	;; [unrolled: 1-line block ×14, first 2 shown]
	v_fma_f64 v[0:1], v[58:59], s[24:25], v[86:87]
	v_add_f64_e32 v[84:85], v[2:3], v[8:9]
	v_fma_f64 v[2:3], v[60:61], s[34:35], v[97:98]
	v_fma_f64 v[8:9], v[54:55], s[18:19], v[88:89]
	v_mul_f64_e32 v[16:17], s[14:15], v[30:31]
	v_add_f64_e32 v[0:1], v[0:1], v[10:11]
	s_delay_alu instid0(VALU_DEP_4) | instskip(NEXT) | instid1(VALU_DEP_2)
	v_add_f64_e32 v[2:3], v[2:3], v[24:25]
	v_add_f64_e32 v[0:1], v[8:9], v[0:1]
	v_fma_f64 v[8:9], v[56:57], s[28:29], v[90:91]
	s_delay_alu instid0(VALU_DEP_1) | instskip(SKIP_1) | instid1(VALU_DEP_1)
	v_add_f64_e32 v[2:3], v[8:9], v[2:3]
	v_fma_f64 v[8:9], v[44:45], s[16:17], v[92:93]
	v_add_f64_e32 v[0:1], v[8:9], v[0:1]
	v_fma_f64 v[8:9], v[52:53], s[38:39], v[94:95]
	s_delay_alu instid0(VALU_DEP_1) | instskip(SKIP_1) | instid1(VALU_DEP_1)
	v_add_f64_e32 v[2:3], v[8:9], v[2:3]
	v_fma_f64 v[8:9], v[50:51], s[12:13], v[100:101]
	v_add_f64_e32 v[0:1], v[8:9], v[0:1]
	v_fma_f64 v[8:9], v[40:41], s[30:31], v[102:103]
	s_delay_alu instid0(VALU_DEP_1) | instskip(SKIP_2) | instid1(VALU_DEP_2)
	v_add_f64_e32 v[2:3], v[8:9], v[2:3]
	v_fma_f64 v[8:9], v[58:59], s[16:17], v[16:17]
	v_fma_f64 v[16:17], v[58:59], s[16:17], -v[16:17]
	v_add_f64_e32 v[8:9], v[8:9], v[12:13]
	v_mul_f64_e32 v[12:13], s[16:17], v[32:33]
	s_delay_alu instid0(VALU_DEP_3) | instskip(NEXT) | instid1(VALU_DEP_2)
	v_add_f64_e32 v[14:15], v[16:17], v[14:15]
	v_fma_f64 v[10:11], v[60:61], s[38:39], v[12:13]
	v_fma_f64 v[12:13], v[60:61], s[14:15], v[12:13]
	s_delay_alu instid0(VALU_DEP_2) | instskip(SKIP_1) | instid1(VALU_DEP_3)
	v_add_f64_e32 v[10:11], v[10:11], v[18:19]
	v_mul_f64_e32 v[18:19], s[30:31], v[36:37]
	v_add_f64_e32 v[12:13], v[12:13], v[26:27]
	v_mul_f64_e32 v[26:27], s[34:35], v[36:37]
	s_delay_alu instid0(VALU_DEP_3) | instskip(SKIP_1) | instid1(VALU_DEP_2)
	v_fma_f64 v[22:23], v[54:55], s[12:13], v[18:19]
	v_fma_f64 v[16:17], v[54:55], s[12:13], -v[18:19]
	v_add_f64_e32 v[8:9], v[22:23], v[8:9]
	v_mul_f64_e32 v[22:23], s[12:13], v[34:35]
	s_delay_alu instid0(VALU_DEP_3) | instskip(NEXT) | instid1(VALU_DEP_2)
	v_add_f64_e32 v[14:15], v[16:17], v[14:15]
	v_fma_f64 v[24:25], v[56:57], s[2:3], v[22:23]
	v_fma_f64 v[16:17], v[56:57], s[30:31], v[22:23]
	v_mul_f64_e32 v[22:23], s[30:31], v[30:31]
	s_delay_alu instid0(VALU_DEP_3) | instskip(SKIP_1) | instid1(VALU_DEP_4)
	v_add_f64_e32 v[10:11], v[24:25], v[10:11]
	v_mul_f64_e32 v[24:25], s[28:29], v[28:29]
	v_add_f64_e32 v[12:13], v[16:17], v[12:13]
	s_delay_alu instid0(VALU_DEP_2) | instskip(SKIP_2) | instid1(VALU_DEP_3)
	v_fma_f64 v[104:105], v[44:45], s[18:19], v[24:25]
	v_fma_f64 v[16:17], v[44:45], s[18:19], -v[24:25]
	v_mul_f64_e32 v[24:25], s[12:13], v[32:33]
	v_add_f64_e32 v[8:9], v[104:105], v[8:9]
	v_mul_f64_e32 v[104:105], s[18:19], v[46:47]
	s_delay_alu instid0(VALU_DEP_4) | instskip(NEXT) | instid1(VALU_DEP_2)
	v_add_f64_e32 v[14:15], v[16:17], v[14:15]
	v_fma_f64 v[106:107], v[52:53], s[20:21], v[104:105]
	v_fma_f64 v[16:17], v[52:53], s[28:29], v[104:105]
	s_delay_alu instid0(VALU_DEP_2) | instskip(SKIP_1) | instid1(VALU_DEP_3)
	v_add_f64_e32 v[10:11], v[106:107], v[10:11]
	v_mul_f64_e32 v[106:107], s[26:27], v[42:43]
	v_add_f64_e32 v[12:13], v[16:17], v[12:13]
	s_delay_alu instid0(VALU_DEP_2) | instskip(SKIP_1) | instid1(VALU_DEP_2)
	v_fma_f64 v[108:109], v[50:51], s[8:9], v[106:107]
	v_fma_f64 v[16:17], v[50:51], s[8:9], -v[106:107]
	v_add_f64_e32 v[8:9], v[108:109], v[8:9]
	v_mul_f64_e32 v[108:109], s[8:9], v[48:49]
	s_delay_alu instid0(VALU_DEP_3) | instskip(SKIP_1) | instid1(VALU_DEP_3)
	v_add_f64_e32 v[16:17], v[16:17], v[14:15]
	v_fma_f64 v[14:15], v[60:61], s[2:3], v[24:25]
	v_fma_f64 v[18:19], v[40:41], s[26:27], v[108:109]
	;; [unrolled: 1-line block ×3, first 2 shown]
	s_delay_alu instid0(VALU_DEP_3) | instskip(NEXT) | instid1(VALU_DEP_3)
	v_add_f64_e32 v[14:15], v[14:15], v[66:67]
	v_add_f64_e32 v[18:19], v[18:19], v[12:13]
	v_fma_f64 v[12:13], v[58:59], s[12:13], v[22:23]
	v_fma_f64 v[22:23], v[58:59], s[12:13], -v[22:23]
	v_add_f64_e32 v[10:11], v[110:111], v[10:11]
	s_delay_alu instid0(VALU_DEP_3) | instskip(SKIP_1) | instid1(VALU_DEP_4)
	v_add_f64_e32 v[12:13], v[12:13], v[38:39]
	v_fma_f64 v[38:39], v[54:55], s[24:25], v[26:27]
	v_add_f64_e32 v[20:21], v[22:23], v[20:21]
	v_fma_f64 v[22:23], v[60:61], s[30:31], v[24:25]
	v_fma_f64 v[24:25], v[54:55], s[24:25], -v[26:27]
	s_delay_alu instid0(VALU_DEP_4) | instskip(SKIP_1) | instid1(VALU_DEP_4)
	v_add_f64_e32 v[12:13], v[38:39], v[12:13]
	v_mul_f64_e32 v[38:39], s[24:25], v[34:35]
	v_add_f64_e32 v[22:23], v[22:23], v[68:69]
	s_delay_alu instid0(VALU_DEP_4) | instskip(NEXT) | instid1(VALU_DEP_3)
	v_add_f64_e32 v[20:21], v[24:25], v[20:21]
	v_fma_f64 v[66:67], v[56:57], s[22:23], v[38:39]
	v_fma_f64 v[24:25], v[56:57], s[34:35], v[38:39]
	v_mul_f64_e32 v[38:39], s[28:29], v[30:31]
	s_delay_alu instid0(VALU_DEP_3) | instskip(SKIP_1) | instid1(VALU_DEP_4)
	v_add_f64_e32 v[14:15], v[66:67], v[14:15]
	v_mul_f64_e32 v[66:67], s[36:37], v[28:29]
	v_add_f64_e32 v[22:23], v[24:25], v[22:23]
	s_delay_alu instid0(VALU_DEP_2) | instskip(SKIP_3) | instid1(VALU_DEP_4)
	v_fma_f64 v[104:105], v[44:45], s[8:9], v[66:67]
	v_fma_f64 v[24:25], v[44:45], s[8:9], -v[66:67]
	v_mul_f64_e32 v[66:67], s[36:37], v[36:37]
	v_mul_f64_e32 v[36:37], s[14:15], v[36:37]
	v_add_f64_e32 v[12:13], v[104:105], v[12:13]
	v_mul_f64_e32 v[104:105], s[8:9], v[46:47]
	v_add_f64_e32 v[20:21], v[24:25], v[20:21]
	v_fma_f64 v[68:69], v[54:55], s[8:9], v[66:67]
	s_delay_alu instid0(VALU_DEP_3) | instskip(SKIP_1) | instid1(VALU_DEP_2)
	v_fma_f64 v[106:107], v[52:53], s[26:27], v[104:105]
	v_fma_f64 v[24:25], v[52:53], s[36:37], v[104:105]
	v_add_f64_e32 v[14:15], v[106:107], v[14:15]
	v_mul_f64_e32 v[106:107], s[14:15], v[42:43]
	s_delay_alu instid0(VALU_DEP_3) | instskip(NEXT) | instid1(VALU_DEP_2)
	v_add_f64_e32 v[22:23], v[24:25], v[22:23]
	v_fma_f64 v[108:109], v[50:51], s[16:17], v[106:107]
	v_fma_f64 v[24:25], v[50:51], s[16:17], -v[106:107]
	s_delay_alu instid0(VALU_DEP_2) | instskip(SKIP_1) | instid1(VALU_DEP_3)
	v_add_f64_e32 v[12:13], v[108:109], v[12:13]
	v_mul_f64_e32 v[108:109], s[16:17], v[48:49]
	v_add_f64_e32 v[20:21], v[24:25], v[20:21]
	v_fma_f64 v[24:25], v[58:59], s[18:19], v[38:39]
	s_delay_alu instid0(VALU_DEP_3) | instskip(SKIP_1) | instid1(VALU_DEP_3)
	v_fma_f64 v[26:27], v[40:41], s[14:15], v[108:109]
	v_fma_f64 v[110:111], v[40:41], s[38:39], v[108:109]
	v_add_f64_e32 v[24:25], v[24:25], v[62:63]
	v_mul_f64_e32 v[62:63], s[18:19], v[32:33]
	v_mul_f64_e32 v[32:33], s[8:9], v[32:33]
	v_add_f64_e32 v[22:23], v[26:27], v[22:23]
	v_add_f64_e32 v[14:15], v[110:111], v[14:15]
	;; [unrolled: 1-line block ×3, first 2 shown]
	v_fma_f64 v[26:27], v[60:61], s[20:21], v[62:63]
	v_mul_f64_e32 v[68:69], s[8:9], v[34:35]
	v_mul_f64_e32 v[34:35], s[16:17], v[34:35]
	s_delay_alu instid0(VALU_DEP_3) | instskip(NEXT) | instid1(VALU_DEP_3)
	v_add_f64_e32 v[26:27], v[26:27], v[74:75]
	v_fma_f64 v[74:75], v[56:57], s[26:27], v[68:69]
	s_delay_alu instid0(VALU_DEP_1) | instskip(SKIP_1) | instid1(VALU_DEP_1)
	v_add_f64_e32 v[26:27], v[74:75], v[26:27]
	v_mul_f64_e32 v[74:75], s[2:3], v[28:29]
	v_fma_f64 v[104:105], v[44:45], s[12:13], v[74:75]
	s_delay_alu instid0(VALU_DEP_1) | instskip(SKIP_2) | instid1(VALU_DEP_2)
	v_add_f64_e32 v[24:25], v[104:105], v[24:25]
	v_mul_f64_e32 v[104:105], s[12:13], v[46:47]
	v_mul_f64_e32 v[46:47], s[24:25], v[46:47]
	v_fma_f64 v[106:107], v[52:53], s[30:31], v[104:105]
	s_delay_alu instid0(VALU_DEP_1) | instskip(SKIP_2) | instid1(VALU_DEP_2)
	v_add_f64_e32 v[26:27], v[106:107], v[26:27]
	v_mul_f64_e32 v[106:107], s[34:35], v[42:43]
	v_mul_f64_e32 v[42:43], s[20:21], v[42:43]
	v_fma_f64 v[108:109], v[50:51], s[24:25], v[106:107]
	s_delay_alu instid0(VALU_DEP_1) | instskip(SKIP_2) | instid1(VALU_DEP_2)
	v_add_f64_e32 v[24:25], v[108:109], v[24:25]
	v_mul_f64_e32 v[108:109], s[24:25], v[48:49]
	v_mul_f64_e32 v[48:49], s[18:19], v[48:49]
	v_fma_f64 v[110:111], v[40:41], s[22:23], v[108:109]
	s_delay_alu instid0(VALU_DEP_1) | instskip(SKIP_1) | instid1(VALU_DEP_1)
	v_add_f64_e32 v[26:27], v[110:111], v[26:27]
	v_mul_f64_e32 v[110:111], s[26:27], v[30:31]
	v_fma_f64 v[30:31], v[58:59], s[8:9], v[110:111]
	s_delay_alu instid0(VALU_DEP_1) | instskip(SKIP_2) | instid1(VALU_DEP_2)
	v_add_f64_e32 v[30:31], v[30:31], v[64:65]
	v_fma_f64 v[64:65], v[60:61], s[36:37], v[32:33]
	v_fma_f64 v[32:33], v[60:61], s[26:27], v[32:33]
	v_add_f64_e32 v[64:65], v[64:65], v[78:79]
	v_fma_f64 v[78:79], v[54:55], s[16:17], v[36:37]
	s_delay_alu instid0(VALU_DEP_3) | instskip(SKIP_1) | instid1(VALU_DEP_3)
	v_add_f64_e32 v[32:33], v[32:33], v[84:85]
	v_fma_f64 v[36:37], v[54:55], s[16:17], -v[36:37]
	v_add_f64_e32 v[30:31], v[78:79], v[30:31]
	v_fma_f64 v[78:79], v[56:57], s[38:39], v[34:35]
	v_fma_f64 v[34:35], v[56:57], s[14:15], v[34:35]
	s_delay_alu instid0(VALU_DEP_2) | instskip(SKIP_1) | instid1(VALU_DEP_3)
	v_add_f64_e32 v[64:65], v[78:79], v[64:65]
	v_mul_f64_e32 v[78:79], s[34:35], v[28:29]
	v_add_f64_e32 v[32:33], v[34:35], v[32:33]
	s_delay_alu instid0(VALU_DEP_2) | instskip(SKIP_1) | instid1(VALU_DEP_2)
	v_fma_f64 v[28:29], v[44:45], s[24:25], v[78:79]
	v_fma_f64 v[34:35], v[44:45], s[24:25], -v[78:79]
	v_add_f64_e32 v[28:29], v[28:29], v[30:31]
	v_fma_f64 v[30:31], v[52:53], s[22:23], v[46:47]
	s_delay_alu instid0(VALU_DEP_1) | instskip(SKIP_1) | instid1(VALU_DEP_1)
	v_add_f64_e32 v[30:31], v[30:31], v[64:65]
	v_fma_f64 v[64:65], v[50:51], s[18:19], v[42:43]
	v_add_f64_e32 v[28:29], v[64:65], v[28:29]
	v_fma_f64 v[64:65], v[40:41], s[28:29], v[48:49]
	s_delay_alu instid0(VALU_DEP_1) | instskip(SKIP_1) | instid1(VALU_DEP_1)
	v_add_f64_e32 v[30:31], v[64:65], v[30:31]
	v_fma_f64 v[64:65], v[58:59], s[8:9], -v[110:111]
	v_add_f64_e32 v[64:65], v[64:65], v[80:81]
	s_delay_alu instid0(VALU_DEP_1) | instskip(NEXT) | instid1(VALU_DEP_1)
	v_add_f64_e32 v[36:37], v[36:37], v[64:65]
	v_add_f64_e32 v[34:35], v[34:35], v[36:37]
	v_fma_f64 v[36:37], v[52:53], s[34:35], v[46:47]
	v_fma_f64 v[46:47], v[40:41], s[34:35], v[108:109]
	s_delay_alu instid0(VALU_DEP_2) | instskip(SKIP_3) | instid1(VALU_DEP_3)
	v_add_f64_e32 v[36:37], v[36:37], v[32:33]
	v_fma_f64 v[32:33], v[50:51], s[18:19], -v[42:43]
	v_fma_f64 v[42:43], v[40:41], s[20:21], v[48:49]
	v_fma_f64 v[48:49], v[54:55], s[18:19], -v[88:89]
	v_add_f64_e32 v[32:33], v[32:33], v[34:35]
	s_delay_alu instid0(VALU_DEP_3) | instskip(SKIP_4) | instid1(VALU_DEP_4)
	v_add_f64_e32 v[34:35], v[42:43], v[36:37]
	v_fma_f64 v[36:37], v[58:59], s[18:19], -v[38:39]
	v_fma_f64 v[38:39], v[60:61], s[28:29], v[62:63]
	v_fma_f64 v[42:43], v[54:55], s[8:9], -v[66:67]
	v_fma_f64 v[54:55], v[56:57], s[20:21], v[90:91]
	v_add_f64_e32 v[36:37], v[36:37], v[76:77]
	s_delay_alu instid0(VALU_DEP_4) | instskip(NEXT) | instid1(VALU_DEP_2)
	v_add_f64_e32 v[38:39], v[38:39], v[70:71]
	v_add_f64_e32 v[36:37], v[42:43], v[36:37]
	v_fma_f64 v[42:43], v[56:57], s[36:37], v[68:69]
	s_delay_alu instid0(VALU_DEP_1) | instskip(SKIP_2) | instid1(VALU_DEP_2)
	v_add_f64_e32 v[38:39], v[42:43], v[38:39]
	v_fma_f64 v[42:43], v[44:45], s[12:13], -v[74:75]
	v_fma_f64 v[44:45], v[44:45], s[16:17], -v[92:93]
	v_add_f64_e32 v[36:37], v[42:43], v[36:37]
	v_fma_f64 v[42:43], v[52:53], s[2:3], v[104:105]
	v_fma_f64 v[52:53], v[52:53], s[14:15], v[94:95]
	s_delay_alu instid0(VALU_DEP_2) | instskip(SKIP_1) | instid1(VALU_DEP_2)
	v_add_f64_e32 v[38:39], v[42:43], v[38:39]
	v_fma_f64 v[42:43], v[50:51], s[24:25], -v[106:107]
	v_add_f64_e32 v[38:39], v[46:47], v[38:39]
	s_delay_alu instid0(VALU_DEP_2)
	v_add_f64_e32 v[36:37], v[42:43], v[36:37]
	v_fma_f64 v[42:43], v[58:59], s[24:25], -v[86:87]
	ds_store_b128 v99, v[8:11] offset:32
	ds_store_b128 v99, v[12:15] offset:48
	;; [unrolled: 1-line block ×6, first 2 shown]
	scratch_load_b128 v[90:93], off, off offset:8 ; 16-byte Folded Reload
	v_fma_f64 v[46:47], v[60:61], s[22:23], v[97:98]
	s_clause 0x1
	scratch_load_b128 v[104:107], off, off offset:40
	scratch_load_b128 v[108:111], off, off offset:56
	ds_store_b128 v99, v[20:23] offset:128
	ds_store_b128 v99, v[16:19] offset:144
	v_add_f64_e32 v[42:43], v[42:43], v[72:73]
	ds_store_b128 v99, v[0:3] offset:16
	ds_store_b128 v99, v[4:7]
	v_add_f64_e32 v[46:47], v[46:47], v[82:83]
	v_add_f64_e32 v[42:43], v[48:49], v[42:43]
	v_fma_f64 v[48:49], v[50:51], s[12:13], -v[100:101]
	v_fma_f64 v[50:51], v[40:41], s[2:3], v[102:103]
	scratch_load_b128 v[100:103], off, off offset:24 ; 16-byte Folded Reload
	v_add_f64_e32 v[46:47], v[54:55], v[46:47]
	v_add_f64_e32 v[40:41], v[44:45], v[42:43]
	s_delay_alu instid0(VALU_DEP_2) | instskip(NEXT) | instid1(VALU_DEP_2)
	v_add_f64_e32 v[42:43], v[52:53], v[46:47]
	v_add_f64_e32 v[40:41], v[48:49], v[40:41]
	s_delay_alu instid0(VALU_DEP_2)
	v_add_f64_e32 v[42:43], v[50:51], v[42:43]
	ds_store_b128 v99, v[40:43] offset:160
	s_clause 0x1
	scratch_load_b128 v[115:118], off, off offset:72
	scratch_load_b128 v[123:126], off, off offset:88
	s_wait_loadcnt 0x5
	v_add_f64_e64 v[74:75], v[246:247], -v[92:93]
	v_add_f64_e32 v[72:73], v[244:245], v[90:91]
	v_add_f64_e64 v[80:81], v[244:245], -v[90:91]
	v_add_f64_e32 v[78:79], v[246:247], v[92:93]
	s_wait_loadcnt 0x4
	v_add_f64_e64 v[26:27], v[254:255], -v[106:107]
	v_add_f64_e32 v[22:23], v[252:253], v[104:105]
	v_add_f64_e64 v[36:37], v[252:253], -v[104:105]
	v_add_f64_e32 v[32:33], v[254:255], v[106:107]
	;; [unrolled: 5-line block ×3, first 2 shown]
	v_mul_f64_e32 v[76:77], s[20:21], v[74:75]
	v_mul_f64_e32 v[84:85], s[14:15], v[74:75]
	;; [unrolled: 1-line block ×8, first 2 shown]
	s_wait_loadcnt 0x2
	v_add_f64_e64 v[14:15], v[250:251], -v[102:103]
	v_add_f64_e32 v[12:13], v[248:249], v[100:101]
	v_add_f64_e64 v[30:31], v[248:249], -v[100:101]
	v_add_f64_e32 v[28:29], v[250:251], v[102:103]
	v_mul_f64_e32 v[48:49], s[36:37], v[40:41]
	v_mul_f64_e32 v[62:63], s[2:3], v[18:19]
	;; [unrolled: 1-line block ×3, first 2 shown]
	v_fma_f64 v[0:1], v[72:73], s[18:19], v[76:77]
	v_fma_f64 v[4:5], v[78:79], s[18:19], -v[82:83]
	v_mul_f64_e32 v[34:35], s[30:31], v[14:15]
	v_mul_f64_e32 v[52:53], s[28:29], v[14:15]
	;; [unrolled: 1-line block ×4, first 2 shown]
	v_add_f64_e32 v[0:1], v[240:241], v[0:1]
	v_fma_f64 v[2:3], v[12:13], s[12:13], v[34:35]
	v_fma_f64 v[6:7], v[12:13], s[18:19], v[52:53]
	s_delay_alu instid0(VALU_DEP_4) | instskip(NEXT) | instid1(VALU_DEP_3)
	v_fma_f64 v[54:55], v[28:29], s[18:19], -v[64:65]
	v_add_f64_e32 v[0:1], v[2:3], v[0:1]
	v_add_f64_e32 v[2:3], v[242:243], v[4:5]
	v_fma_f64 v[4:5], v[28:29], s[12:13], -v[56:57]
	s_wait_loadcnt 0x0
	v_add_f64_e64 v[10:11], v[125:126], -v[117:118]
	v_add_f64_e32 v[8:9], v[123:124], v[115:116]
	v_add_f64_e64 v[24:25], v[123:124], -v[115:116]
	v_add_f64_e32 v[20:21], v[125:126], v[117:118]
	v_add_f64_e32 v[2:3], v[4:5], v[2:3]
	v_fma_f64 v[4:5], v[22:23], s[24:25], v[42:43]
	v_mul_f64_e32 v[46:47], s[14:15], v[10:11]
	v_mul_f64_e32 v[50:51], s[14:15], v[24:25]
	s_delay_alu instid0(VALU_DEP_3) | instskip(SKIP_1) | instid1(VALU_DEP_1)
	v_add_f64_e32 v[0:1], v[4:5], v[0:1]
	v_fma_f64 v[4:5], v[32:33], s[24:25], -v[44:45]
	v_add_f64_e32 v[2:3], v[4:5], v[2:3]
	v_fma_f64 v[4:5], v[16:17], s[8:9], v[58:59]
	s_delay_alu instid0(VALU_DEP_1) | instskip(SKIP_1) | instid1(VALU_DEP_1)
	v_add_f64_e32 v[0:1], v[4:5], v[0:1]
	v_fma_f64 v[4:5], v[38:39], s[8:9], -v[48:49]
	v_add_f64_e32 v[2:3], v[4:5], v[2:3]
	v_fma_f64 v[4:5], v[8:9], s[16:17], v[46:47]
	s_delay_alu instid0(VALU_DEP_1) | instskip(SKIP_1) | instid1(VALU_DEP_1)
	v_add_f64_e32 v[0:1], v[4:5], v[0:1]
	v_fma_f64 v[4:5], v[20:21], s[16:17], -v[50:51]
	v_add_f64_e32 v[2:3], v[4:5], v[2:3]
	v_fma_f64 v[4:5], v[72:73], s[16:17], v[84:85]
	s_delay_alu instid0(VALU_DEP_1) | instskip(NEXT) | instid1(VALU_DEP_1)
	v_add_f64_e32 v[4:5], v[240:241], v[4:5]
	v_add_f64_e32 v[4:5], v[6:7], v[4:5]
	v_fma_f64 v[6:7], v[78:79], s[16:17], -v[86:87]
	s_delay_alu instid0(VALU_DEP_1) | instskip(NEXT) | instid1(VALU_DEP_1)
	v_add_f64_e32 v[6:7], v[242:243], v[6:7]
	v_add_f64_e32 v[6:7], v[54:55], v[6:7]
	v_mul_f64_e32 v[54:55], s[36:37], v[26:27]
	s_delay_alu instid0(VALU_DEP_1) | instskip(NEXT) | instid1(VALU_DEP_1)
	v_fma_f64 v[60:61], v[22:23], s[8:9], v[54:55]
	v_add_f64_e32 v[4:5], v[60:61], v[4:5]
	v_fma_f64 v[60:61], v[32:33], s[8:9], -v[66:67]
	s_delay_alu instid0(VALU_DEP_1) | instskip(SKIP_1) | instid1(VALU_DEP_1)
	v_add_f64_e32 v[6:7], v[60:61], v[6:7]
	v_fma_f64 v[60:61], v[16:17], s[12:13], v[62:63]
	v_add_f64_e32 v[4:5], v[60:61], v[4:5]
	v_fma_f64 v[60:61], v[38:39], s[12:13], -v[68:69]
	s_delay_alu instid0(VALU_DEP_1) | instskip(SKIP_1) | instid1(VALU_DEP_1)
	v_add_f64_e32 v[6:7], v[60:61], v[6:7]
	v_mul_f64_e32 v[60:61], s[34:35], v[10:11]
	v_fma_f64 v[70:71], v[8:9], s[24:25], v[60:61]
	s_delay_alu instid0(VALU_DEP_1) | instskip(SKIP_1) | instid1(VALU_DEP_1)
	v_add_f64_e32 v[4:5], v[70:71], v[4:5]
	v_mul_f64_e32 v[70:71], s[34:35], v[24:25]
	v_fma_f64 v[88:89], v[20:21], s[24:25], -v[70:71]
	s_delay_alu instid0(VALU_DEP_1)
	v_add_f64_e32 v[6:7], v[88:89], v[6:7]
	s_and_saveexec_b32 s1, vcc_lo
	s_cbranch_execz .LBB0_17
; %bb.16:
	s_clause 0x3
	scratch_store_b32 off, v147, off offset:576
	scratch_store_b32 off, v146, off offset:580
	;; [unrolled: 1-line block ×4, first 2 shown]
	v_dual_mov_b32 v147, v154 :: v_dual_mov_b32 v146, v155
	v_dual_mov_b32 v155, v145 :: v_dual_mov_b32 v154, v144
	;; [unrolled: 1-line block ×3, first 2 shown]
	v_mov_b32_e32 v144, v141
	v_dual_mov_b32 v143, v140 :: v_dual_mov_b32 v142, v139
	v_dual_mov_b32 v141, v138 :: v_dual_mov_b32 v140, v137
	;; [unrolled: 1-line block ×4, first 2 shown]
	v_add_f64_e32 v[88:89], v[242:243], v[246:247]
	v_dual_mov_b32 v246, v119 :: v_dual_mov_b32 v247, v120
	v_dual_mov_b32 v135, v132 :: v_dual_mov_b32 v134, v131
	v_mov_b32_e32 v133, v130
	v_dual_mov_b32 v131, v128 :: v_dual_mov_b32 v128, v121
	v_dual_mov_b32 v132, v129 :: v_dual_mov_b32 v129, v122
	;; [unrolled: 1-line block ×4, first 2 shown]
	s_clause 0x1
	scratch_store_b32 off, v112, off offset:568
	scratch_store_b32 off, v114, off offset:572
	v_dual_mov_b32 v130, v127 :: v_dual_mov_b32 v127, v113
	v_dual_mov_b32 v114, v93 :: v_dual_mov_b32 v113, v92
	v_dual_mov_b32 v112, v91 :: v_dual_mov_b32 v111, v90
	v_add_f64_e32 v[90:91], v[240:241], v[244:245]
	v_mul_f64_e32 v[92:93], s[16:17], v[78:79]
	v_mul_f64_e32 v[94:95], s[22:23], v[80:81]
	v_add_f64_e32 v[88:89], v[88:89], v[250:251]
	v_mul_f64_e32 v[250:251], s[20:21], v[10:11]
	v_add_f64_e32 v[90:91], v[90:91], v[248:249]
	v_add_f64_e32 v[86:87], v[86:87], v[92:93]
	v_mul_f64_e32 v[92:93], s[16:17], v[72:73]
	v_mul_f64_e32 v[248:249], s[20:21], v[24:25]
	v_add_f64_e32 v[88:89], v[88:89], v[254:255]
	v_add_f64_e32 v[90:91], v[90:91], v[252:253]
	v_dual_mov_b32 v255, v103 :: v_dual_mov_b32 v254, v102
	v_add_f64_e64 v[84:85], v[92:93], -v[84:85]
	v_mul_f64_e32 v[92:93], s[18:19], v[78:79]
	v_dual_mov_b32 v253, v101 :: v_dual_mov_b32 v252, v100
	v_fma_f64 v[99:100], v[78:79], s[24:25], -v[94:95]
	v_fma_f64 v[94:95], v[78:79], s[24:25], v[94:95]
	v_add_f64_e32 v[86:87], v[242:243], v[86:87]
	v_add_f64_e32 v[88:89], v[88:89], v[150:151]
	;; [unrolled: 1-line block ×5, first 2 shown]
	v_mul_f64_e32 v[92:93], s[18:19], v[72:73]
	v_add_f64_e32 v[99:100], v[242:243], v[99:100]
	v_add_f64_e32 v[94:95], v[242:243], v[94:95]
	;; [unrolled: 1-line block ×5, first 2 shown]
	v_add_f64_e64 v[76:77], v[92:93], -v[76:77]
	v_mul_f64_e32 v[92:93], s[2:3], v[80:81]
	v_mul_f64_e32 v[80:81], s[36:37], v[80:81]
	v_add_f64_e32 v[88:89], v[88:89], v[117:118]
	v_add_f64_e32 v[90:91], v[90:91], v[115:116]
	v_dual_mov_b32 v118, v107 :: v_dual_mov_b32 v117, v106
	v_dual_mov_b32 v116, v105 :: v_dual_mov_b32 v115, v104
	v_mul_f64_e32 v[103:104], s[22:23], v[74:75]
	v_fma_f64 v[97:98], v[78:79], s[12:13], v[92:93]
	v_fma_f64 v[92:93], v[78:79], s[12:13], -v[92:93]
	v_fma_f64 v[101:102], v[78:79], s[8:9], v[80:81]
	v_fma_f64 v[78:79], v[78:79], s[8:9], -v[80:81]
	v_mul_f64_e32 v[80:81], s[2:3], v[74:75]
	v_mul_f64_e32 v[74:75], s[36:37], v[74:75]
	v_add_f64_e32 v[88:89], v[88:89], v[121:122]
	v_dual_mov_b32 v122, v129 :: v_dual_mov_b32 v129, v132
	v_dual_mov_b32 v121, v128 :: v_dual_mov_b32 v128, v131
	v_add_f64_e32 v[90:91], v[90:91], v[119:120]
	v_dual_mov_b32 v120, v247 :: v_dual_mov_b32 v119, v246
	v_fma_f64 v[107:108], v[72:73], s[24:25], v[103:104]
	v_fma_f64 v[103:104], v[72:73], s[24:25], -v[103:104]
	v_add_f64_e32 v[92:93], v[242:243], v[92:93]
	v_add_f64_e32 v[101:102], v[242:243], v[101:102]
	;; [unrolled: 1-line block ×3, first 2 shown]
	v_fma_f64 v[105:106], v[72:73], s[12:13], -v[80:81]
	v_fma_f64 v[80:81], v[72:73], s[12:13], v[80:81]
	v_fma_f64 v[109:110], v[72:73], s[8:9], v[74:75]
	v_fma_f64 v[72:73], v[72:73], s[8:9], -v[74:75]
	v_add_f64_e32 v[74:75], v[242:243], v[97:98]
	v_mul_f64_e32 v[78:79], s[26:27], v[14:15]
	v_add_f64_e32 v[103:104], v[240:241], v[103:104]
	v_add_f64_e32 v[97:98], v[240:241], v[105:106]
	;; [unrolled: 1-line block ×4, first 2 shown]
	v_mul_f64_e32 v[76:77], s[26:27], v[30:31]
	v_add_f64_e32 v[150:151], v[240:241], v[72:73]
	v_add_f64_e32 v[80:81], v[240:241], v[80:81]
	;; [unrolled: 1-line block ×3, first 2 shown]
	s_delay_alu instid0(VALU_DEP_4) | instskip(SKIP_1) | instid1(VALU_DEP_2)
	v_fma_f64 v[72:73], v[28:29], s[8:9], v[76:77]
	v_fma_f64 v[76:77], v[28:29], s[8:9], -v[76:77]
	v_add_f64_e32 v[72:73], v[72:73], v[74:75]
	v_fma_f64 v[74:75], v[12:13], s[8:9], -v[78:79]
	v_fma_f64 v[78:79], v[12:13], s[8:9], v[78:79]
	s_delay_alu instid0(VALU_DEP_4) | instskip(SKIP_1) | instid1(VALU_DEP_4)
	v_add_f64_e32 v[76:77], v[76:77], v[92:93]
	v_fma_f64 v[92:93], v[8:9], s[18:19], v[250:251]
	v_add_f64_e32 v[74:75], v[74:75], v[97:98]
	v_mul_f64_e32 v[97:98], s[14:15], v[36:37]
	v_add_f64_e32 v[78:79], v[78:79], v[80:81]
	s_delay_alu instid0(VALU_DEP_2) | instskip(SKIP_3) | instid1(VALU_DEP_4)
	v_fma_f64 v[240:241], v[32:33], s[16:17], v[97:98]
	v_fma_f64 v[80:81], v[32:33], s[16:17], -v[97:98]
	v_mul_f64_e32 v[97:98], s[26:27], v[10:11]
	v_mul_f64_e32 v[10:11], s[2:3], v[10:11]
	v_add_f64_e32 v[72:73], v[240:241], v[72:73]
	v_mul_f64_e32 v[240:241], s[14:15], v[26:27]
	v_add_f64_e32 v[76:77], v[80:81], v[76:77]
	s_delay_alu instid0(VALU_DEP_2) | instskip(SKIP_1) | instid1(VALU_DEP_2)
	v_fma_f64 v[242:243], v[22:23], s[16:17], -v[240:241]
	v_fma_f64 v[80:81], v[22:23], s[16:17], v[240:241]
	v_add_f64_e32 v[74:75], v[242:243], v[74:75]
	v_mul_f64_e32 v[242:243], s[34:35], v[40:41]
	s_delay_alu instid0(VALU_DEP_3) | instskip(NEXT) | instid1(VALU_DEP_2)
	v_add_f64_e32 v[78:79], v[80:81], v[78:79]
	v_fma_f64 v[244:245], v[38:39], s[24:25], v[242:243]
	v_fma_f64 v[80:81], v[38:39], s[24:25], -v[242:243]
	s_delay_alu instid0(VALU_DEP_2) | instskip(SKIP_1) | instid1(VALU_DEP_3)
	v_add_f64_e32 v[72:73], v[244:245], v[72:73]
	v_mul_f64_e32 v[244:245], s[34:35], v[18:19]
	v_add_f64_e32 v[76:77], v[80:81], v[76:77]
	s_delay_alu instid0(VALU_DEP_2) | instskip(SKIP_1) | instid1(VALU_DEP_2)
	v_fma_f64 v[80:81], v[16:17], s[24:25], v[244:245]
	v_fma_f64 v[246:247], v[16:17], s[24:25], -v[244:245]
	v_add_f64_e32 v[80:81], v[80:81], v[78:79]
	v_fma_f64 v[78:79], v[20:21], s[18:19], -v[248:249]
	s_delay_alu instid0(VALU_DEP_3) | instskip(SKIP_1) | instid1(VALU_DEP_3)
	v_add_f64_e32 v[246:247], v[246:247], v[74:75]
	v_fma_f64 v[74:75], v[20:21], s[18:19], v[248:249]
	v_add_f64_e32 v[78:79], v[78:79], v[76:77]
	v_add_f64_e32 v[76:77], v[92:93], v[80:81]
	v_mul_f64_e32 v[80:81], s[18:19], v[28:29]
	v_mul_f64_e32 v[92:93], s[26:27], v[24:25]
	v_add_f64_e32 v[74:75], v[74:75], v[72:73]
	v_fma_f64 v[72:73], v[8:9], s[18:19], -v[250:251]
	s_delay_alu instid0(VALU_DEP_4) | instskip(SKIP_1) | instid1(VALU_DEP_3)
	v_add_f64_e32 v[64:65], v[64:65], v[80:81]
	v_mul_f64_e32 v[80:81], s[18:19], v[12:13]
	v_add_f64_e32 v[72:73], v[72:73], v[246:247]
	s_delay_alu instid0(VALU_DEP_3) | instskip(NEXT) | instid1(VALU_DEP_3)
	v_add_f64_e32 v[64:65], v[64:65], v[86:87]
	v_add_f64_e64 v[52:53], v[80:81], -v[52:53]
	v_mul_f64_e32 v[80:81], s[8:9], v[32:33]
	s_delay_alu instid0(VALU_DEP_2) | instskip(NEXT) | instid1(VALU_DEP_2)
	v_add_f64_e32 v[52:53], v[52:53], v[84:85]
	v_add_f64_e32 v[66:67], v[66:67], v[80:81]
	v_mul_f64_e32 v[80:81], s[8:9], v[22:23]
	s_delay_alu instid0(VALU_DEP_2) | instskip(NEXT) | instid1(VALU_DEP_2)
	v_add_f64_e32 v[64:65], v[66:67], v[64:65]
	v_add_f64_e64 v[54:55], v[80:81], -v[54:55]
	v_mul_f64_e32 v[80:81], s[12:13], v[38:39]
	v_add_f64_e32 v[66:67], v[90:91], v[115:116]
	s_delay_alu instid0(VALU_DEP_3) | instskip(NEXT) | instid1(VALU_DEP_3)
	v_add_f64_e32 v[52:53], v[54:55], v[52:53]
	v_add_f64_e32 v[68:69], v[68:69], v[80:81]
	v_mul_f64_e32 v[80:81], s[12:13], v[16:17]
	v_mul_f64_e32 v[54:55], s[24:25], v[8:9]
	v_add_f64_e32 v[66:67], v[66:67], v[252:253]
	s_delay_alu instid0(VALU_DEP_3) | instskip(SKIP_1) | instid1(VALU_DEP_4)
	v_add_f64_e64 v[62:63], v[80:81], -v[62:63]
	v_mul_f64_e32 v[80:81], s[24:25], v[20:21]
	v_add_f64_e64 v[60:61], v[54:55], -v[60:61]
	v_add_f64_e32 v[54:55], v[68:69], v[64:65]
	v_mul_f64_e32 v[68:69], s[14:15], v[30:31]
	v_add_f64_e32 v[64:65], v[88:89], v[117:118]
	v_mul_f64_e32 v[30:31], s[22:23], v[30:31]
	v_add_f64_e32 v[52:53], v[62:63], v[52:53]
	v_add_f64_e32 v[70:71], v[70:71], v[80:81]
	v_mul_f64_e32 v[80:81], s[30:31], v[36:37]
	v_add_f64_e32 v[64:65], v[64:65], v[254:255]
	s_delay_alu instid0(VALU_DEP_4)
	v_add_f64_e32 v[52:53], v[60:61], v[52:53]
	v_fma_f64 v[60:61], v[28:29], s[16:17], -v[68:69]
	v_add_f64_e32 v[54:55], v[70:71], v[54:55]
	v_mul_f64_e32 v[70:71], s[14:15], v[14:15]
	v_fma_f64 v[84:85], v[32:33], s[12:13], -v[80:81]
	v_mul_f64_e32 v[14:15], s[22:23], v[14:15]
	v_fma_f64 v[68:69], v[28:29], s[16:17], v[68:69]
	v_add_f64_e32 v[60:61], v[60:61], v[99:100]
	v_fma_f64 v[62:63], v[12:13], s[16:17], v[70:71]
	s_delay_alu instid0(VALU_DEP_2) | instskip(SKIP_1) | instid1(VALU_DEP_3)
	v_add_f64_e32 v[60:61], v[84:85], v[60:61]
	v_mul_f64_e32 v[84:85], s[30:31], v[26:27]
	v_add_f64_e32 v[62:63], v[62:63], v[105:106]
	v_mul_f64_e32 v[26:27], s[20:21], v[26:27]
	s_delay_alu instid0(VALU_DEP_3) | instskip(NEXT) | instid1(VALU_DEP_1)
	v_fma_f64 v[86:87], v[22:23], s[12:13], v[84:85]
	v_add_f64_e32 v[62:63], v[86:87], v[62:63]
	v_mul_f64_e32 v[86:87], s[28:29], v[40:41]
	s_delay_alu instid0(VALU_DEP_1) | instskip(NEXT) | instid1(VALU_DEP_1)
	v_fma_f64 v[88:89], v[38:39], s[18:19], -v[86:87]
	v_add_f64_e32 v[60:61], v[88:89], v[60:61]
	v_mul_f64_e32 v[88:89], s[28:29], v[18:19]
	v_mul_f64_e32 v[18:19], s[14:15], v[18:19]
	s_delay_alu instid0(VALU_DEP_2) | instskip(NEXT) | instid1(VALU_DEP_1)
	v_fma_f64 v[90:91], v[16:17], s[18:19], v[88:89]
	v_add_f64_e32 v[90:91], v[90:91], v[62:63]
	v_fma_f64 v[62:63], v[20:21], s[8:9], -v[92:93]
	s_delay_alu instid0(VALU_DEP_1) | instskip(SKIP_1) | instid1(VALU_DEP_1)
	v_add_f64_e32 v[62:63], v[62:63], v[60:61]
	v_fma_f64 v[60:61], v[8:9], s[8:9], v[97:98]
	v_add_f64_e32 v[60:61], v[60:61], v[90:91]
	v_mul_f64_e32 v[90:91], s[12:13], v[28:29]
	s_delay_alu instid0(VALU_DEP_1) | instskip(SKIP_1) | instid1(VALU_DEP_1)
	v_add_f64_e32 v[56:57], v[56:57], v[90:91]
	v_mul_f64_e32 v[90:91], s[12:13], v[12:13]
	v_add_f64_e64 v[34:35], v[90:91], -v[34:35]
	v_mul_f64_e32 v[90:91], s[24:25], v[32:33]
	s_delay_alu instid0(VALU_DEP_2) | instskip(NEXT) | instid1(VALU_DEP_2)
	v_add_f64_e32 v[34:35], v[34:35], v[107:108]
	v_add_f64_e32 v[44:45], v[44:45], v[90:91]
	v_mul_f64_e32 v[90:91], s[24:25], v[22:23]
	s_delay_alu instid0(VALU_DEP_1) | instskip(SKIP_1) | instid1(VALU_DEP_2)
	v_add_f64_e64 v[42:43], v[90:91], -v[42:43]
	v_mul_f64_e32 v[90:91], s[8:9], v[38:39]
	v_add_f64_e32 v[34:35], v[42:43], v[34:35]
	s_delay_alu instid0(VALU_DEP_2) | instskip(SKIP_1) | instid1(VALU_DEP_1)
	v_add_f64_e32 v[48:49], v[48:49], v[90:91]
	v_mul_f64_e32 v[90:91], s[8:9], v[16:17]
	v_add_f64_e64 v[58:59], v[90:91], -v[58:59]
	v_mul_f64_e32 v[90:91], s[16:17], v[20:21]
	s_delay_alu instid0(VALU_DEP_2) | instskip(NEXT) | instid1(VALU_DEP_2)
	v_add_f64_e32 v[34:35], v[58:59], v[34:35]
	v_add_f64_e32 v[50:51], v[50:51], v[90:91]
	v_mul_f64_e32 v[90:91], s[16:17], v[8:9]
	s_delay_alu instid0(VALU_DEP_1)
	v_add_f64_e64 v[46:47], v[90:91], -v[46:47]
	v_fma_f64 v[90:91], v[28:29], s[24:25], v[30:31]
	v_fma_f64 v[28:29], v[28:29], s[24:25], -v[30:31]
	v_fma_f64 v[30:31], v[12:13], s[16:17], -v[70:71]
	;; [unrolled: 1-line block ×3, first 2 shown]
	v_fma_f64 v[12:13], v[12:13], s[24:25], v[14:15]
	v_mul_f64_e32 v[14:15], s[20:21], v[36:37]
	v_fma_f64 v[36:37], v[32:33], s[12:13], v[80:81]
	v_add_f64_e32 v[28:29], v[28:29], v[148:149]
	v_add_f64_e32 v[30:31], v[30:31], v[103:104]
	;; [unrolled: 1-line block ×3, first 2 shown]
	v_fma_f64 v[80:81], v[32:33], s[18:19], v[14:15]
	v_fma_f64 v[14:15], v[32:33], s[18:19], -v[14:15]
	v_fma_f64 v[32:33], v[22:23], s[12:13], -v[84:85]
	;; [unrolled: 1-line block ×3, first 2 shown]
	v_fma_f64 v[22:23], v[22:23], s[18:19], v[26:27]
	v_mul_f64_e32 v[26:27], s[14:15], v[40:41]
	v_fma_f64 v[40:41], v[38:39], s[18:19], v[86:87]
	v_add_f64_e32 v[14:15], v[14:15], v[28:29]
	v_add_f64_e32 v[30:31], v[32:33], v[30:31]
	;; [unrolled: 1-line block ×3, first 2 shown]
	v_fma_f64 v[86:87], v[38:39], s[16:17], v[26:27]
	v_fma_f64 v[26:27], v[38:39], s[16:17], -v[26:27]
	v_add_f64_e32 v[38:39], v[56:57], v[82:83]
	v_add_f64_e32 v[56:57], v[68:69], v[94:95]
	;; [unrolled: 1-line block ×3, first 2 shown]
	v_mul_f64_e32 v[22:23], s[2:3], v[24:25]
	v_fma_f64 v[82:83], v[16:17], s[18:19], -v[88:89]
	v_fma_f64 v[88:89], v[16:17], s[16:17], -v[18:19]
	v_fma_f64 v[16:17], v[16:17], s[16:17], v[18:19]
	v_add_f64_e32 v[18:19], v[70:71], v[150:151]
	v_fma_f64 v[24:25], v[20:21], s[8:9], v[92:93]
	v_add_f64_e32 v[26:27], v[26:27], v[14:15]
	v_add_f64_e32 v[38:39], v[44:45], v[38:39]
	v_add_f64_e32 v[36:37], v[36:37], v[56:57]
	v_add_f64_e32 v[32:33], v[80:81], v[68:69]
	v_fma_f64 v[28:29], v[20:21], s[12:13], v[22:23]
	v_fma_f64 v[20:21], v[20:21], s[12:13], -v[22:23]
	v_add_f64_e32 v[30:31], v[82:83], v[30:31]
	v_add_f64_e32 v[16:17], v[16:17], v[12:13]
	;; [unrolled: 1-line block ×3, first 2 shown]
	v_fma_f64 v[12:13], v[8:9], s[8:9], -v[97:98]
	v_add_f64_e32 v[22:23], v[48:49], v[38:39]
	v_add_f64_e32 v[36:37], v[40:41], v[36:37]
	;; [unrolled: 1-line block ×3, first 2 shown]
	v_fma_f64 v[38:39], v[8:9], s[12:13], v[10:11]
	v_fma_f64 v[40:41], v[8:9], s[12:13], -v[10:11]
	v_add_f64_e32 v[8:9], v[46:47], v[34:35]
	v_add_f64_e32 v[42:43], v[88:89], v[18:19]
	;; [unrolled: 1-line block ×6, first 2 shown]
	v_mov_b32_e32 v113, v127
	v_dual_mov_b32 v127, v130 :: v_dual_mov_b32 v130, v133
	v_dual_mov_b32 v132, v135 :: v_dual_mov_b32 v131, v134
	;; [unrolled: 1-line block ×7, first 2 shown]
	v_mov_b32_e32 v144, v154
	v_add_f64_e32 v[14:15], v[24:25], v[36:37]
	v_add_f64_e32 v[18:19], v[28:29], v[32:33]
	scratch_load_b32 v114, off, off offset:572 ; 4-byte Folded Reload
	v_mov_b32_e32 v143, v153
	v_mov_b32_e32 v145, v155
	v_dual_mov_b32 v155, v146 :: v_dual_mov_b32 v154, v147
	s_clause 0x3
	scratch_load_b32 v153, off, off offset:588
	scratch_load_b32 v152, off, off offset:584
	;; [unrolled: 1-line block ×4, first 2 shown]
	v_add_f64_e32 v[24:25], v[66:67], v[111:112]
	s_clause 0x1
	scratch_load_b32 v112, off, off offset:568
	scratch_load_b32 v28, off, off offset:548 th:TH_LOAD_LU
	v_add_f64_e32 v[20:21], v[38:39], v[16:17]
	v_add_f64_e32 v[16:17], v[40:41], v[42:43]
	s_wait_loadcnt 0x0
	v_lshlrev_b32_e32 v28, 4, v28
	ds_store_b128 v28, v[0:3] offset:48
	ds_store_b128 v28, v[60:63] offset:32
	;; [unrolled: 1-line block ×9, first 2 shown]
	ds_store_b128 v28, v[24:27]
	ds_store_b128 v28, v[16:19] offset:160
.LBB0_17:
	s_wait_alu 0xfffe
	s_or_b32 exec_lo, exec_lo, s1
	global_wb scope:SCOPE_SE
	s_wait_storecnt_dscnt 0x0
	s_barrier_signal -1
	s_barrier_wait -1
	global_inv scope:SCOPE_SE
	ds_load_b128 v[12:15], v96
	ds_load_b128 v[16:19], v96 offset:1760
	ds_load_b128 v[60:63], v96 offset:14960
	;; [unrolled: 1-line block ×13, first 2 shown]
	s_and_saveexec_b32 s1, s0
	s_cbranch_execz .LBB0_19
; %bb.18:
	ds_load_b128 v[0:3], v96 offset:12320
	ds_load_b128 v[4:7], v96 offset:25520
.LBB0_19:
	s_wait_alu 0xfffe
	s_or_b32 exec_lo, exec_lo, s1
	s_clause 0x1
	scratch_load_b128 v[64:67], off, off offset:324 th:TH_LOAD_LU
	scratch_load_b128 v[70:73], off, off offset:340 th:TH_LOAD_LU
	s_wait_loadcnt_dscnt 0x103
	v_mul_f64_e32 v[56:57], v[66:67], v[94:95]
	v_mul_f64_e32 v[58:59], v[66:67], v[92:93]
	scratch_load_b128 v[66:69], off, off offset:292 th:TH_LOAD_LU ; 16-byte Folded Reload
	v_fma_f64 v[56:57], v[64:65], v[92:93], v[56:57]
	v_fma_f64 v[58:59], v[64:65], v[94:95], -v[58:59]
	s_wait_loadcnt 0x0
	v_mul_f64_e32 v[64:65], v[68:69], v[62:63]
	s_delay_alu instid0(VALU_DEP_1) | instskip(SKIP_1) | instid1(VALU_DEP_1)
	v_fma_f64 v[64:65], v[66:67], v[60:61], v[64:65]
	v_mul_f64_e32 v[60:61], v[68:69], v[60:61]
	v_fma_f64 v[60:61], v[66:67], v[62:63], -v[60:61]
	scratch_load_b128 v[66:69], off, off offset:372 th:TH_LOAD_LU ; 16-byte Folded Reload
	s_wait_loadcnt 0x0
	v_mul_f64_e32 v[62:63], v[68:69], v[54:55]
	s_delay_alu instid0(VALU_DEP_1) | instskip(SKIP_1) | instid1(VALU_DEP_1)
	v_fma_f64 v[62:63], v[66:67], v[52:53], v[62:63]
	v_mul_f64_e32 v[52:53], v[68:69], v[52:53]
	v_fma_f64 v[52:53], v[66:67], v[54:55], -v[52:53]
	scratch_load_b128 v[66:69], off, off offset:356 th:TH_LOAD_LU ; 16-byte Folded Reload
	s_wait_loadcnt 0x0
	v_mul_f64_e32 v[54:55], v[68:69], v[46:47]
	s_delay_alu instid0(VALU_DEP_1) | instskip(SKIP_1) | instid1(VALU_DEP_1)
	v_fma_f64 v[54:55], v[66:67], v[44:45], v[54:55]
	v_mul_f64_e32 v[44:45], v[68:69], v[44:45]
	v_fma_f64 v[66:67], v[66:67], v[46:47], -v[44:45]
	v_mul_f64_e32 v[44:45], v[72:73], v[42:43]
	v_add_f64_e64 v[46:47], v[26:27], -v[52:53]
	s_delay_alu instid0(VALU_DEP_2) | instskip(SKIP_1) | instid1(VALU_DEP_3)
	v_fma_f64 v[68:69], v[70:71], v[40:41], v[44:45]
	v_mul_f64_e32 v[40:41], v[72:73], v[40:41]
	v_fma_f64 v[26:27], v[26:27], 2.0, -v[46:47]
	s_delay_alu instid0(VALU_DEP_3) | instskip(NEXT) | instid1(VALU_DEP_3)
	v_add_f64_e64 v[52:53], v[32:33], -v[68:69]
	v_fma_f64 v[70:71], v[70:71], v[42:43], -v[40:41]
	scratch_load_b128 v[42:45], off, off offset:308 th:TH_LOAD_LU ; 16-byte Folded Reload
	v_fma_f64 v[32:33], v[32:33], 2.0, -v[52:53]
	s_wait_loadcnt_dscnt 0x1
	v_mul_f64_e32 v[40:41], v[44:45], v[50:51]
	s_delay_alu instid0(VALU_DEP_1) | instskip(SKIP_3) | instid1(VALU_DEP_3)
	v_fma_f64 v[72:73], v[42:43], v[48:49], v[40:41]
	v_mul_f64_e32 v[40:41], v[44:45], v[48:49]
	v_add_f64_e64 v[48:49], v[20:21], -v[54:55]
	v_add_f64_e64 v[54:55], v[34:35], -v[70:71]
	v_fma_f64 v[74:75], v[42:43], v[50:51], -v[40:41]
	scratch_load_b128 v[42:45], off, off offset:388 th:TH_LOAD_LU ; 16-byte Folded Reload
	v_add_f64_e64 v[50:51], v[22:23], -v[66:67]
	v_fma_f64 v[20:21], v[20:21], 2.0, -v[48:49]
	v_fma_f64 v[34:35], v[34:35], 2.0, -v[54:55]
	global_wb scope:SCOPE_SE
	s_wait_loadcnt_dscnt 0x0
	s_barrier_signal -1
	s_barrier_wait -1
	global_inv scope:SCOPE_SE
	v_fma_f64 v[22:23], v[22:23], 2.0, -v[50:51]
	v_mul_f64_e32 v[40:41], v[44:45], v[38:39]
	s_delay_alu instid0(VALU_DEP_1) | instskip(SKIP_3) | instid1(VALU_DEP_3)
	v_fma_f64 v[76:77], v[42:43], v[36:37], v[40:41]
	v_mul_f64_e32 v[36:37], v[44:45], v[36:37]
	v_add_f64_e64 v[40:41], v[16:17], -v[64:65]
	v_add_f64_e64 v[44:45], v[24:25], -v[62:63]
	v_fma_f64 v[78:79], v[42:43], v[38:39], -v[36:37]
	v_add_f64_e64 v[36:37], v[12:13], -v[56:57]
	v_add_f64_e64 v[38:39], v[14:15], -v[58:59]
	;; [unrolled: 1-line block ×6, first 2 shown]
	v_fma_f64 v[16:17], v[16:17], 2.0, -v[40:41]
	v_fma_f64 v[24:25], v[24:25], 2.0, -v[44:45]
	v_add_f64_e64 v[62:63], v[10:11], -v[78:79]
	v_fma_f64 v[12:13], v[12:13], 2.0, -v[36:37]
	v_fma_f64 v[14:15], v[14:15], 2.0, -v[38:39]
	;; [unrolled: 1-line block ×7, first 2 shown]
	ds_store_b128 v128, v[36:39] offset:176
	ds_store_b128 v128, v[12:15]
	ds_store_b128 v127, v[16:19]
	ds_store_b128 v127, v[40:43] offset:176
	ds_store_b128 v121, v[24:27]
	ds_store_b128 v121, v[44:47] offset:176
	;; [unrolled: 2-line block ×6, first 2 shown]
	s_and_saveexec_b32 s1, s0
	s_cbranch_execz .LBB0_21
; %bb.20:
	scratch_load_b128 v[12:15], off, off offset:552 th:TH_LOAD_LU ; 16-byte Folded Reload
	s_wait_loadcnt 0x0
	v_mul_f64_e32 v[8:9], v[14:15], v[4:5]
	v_mul_f64_e32 v[10:11], v[14:15], v[6:7]
	s_delay_alu instid0(VALU_DEP_2) | instskip(NEXT) | instid1(VALU_DEP_2)
	v_fma_f64 v[6:7], v[12:13], v[6:7], -v[8:9]
	v_fma_f64 v[4:5], v[12:13], v[4:5], v[10:11]
	v_and_b32_e32 v8, 0xffff, v113
	s_delay_alu instid0(VALU_DEP_1) | instskip(NEXT) | instid1(VALU_DEP_4)
	v_lshlrev_b32_e32 v8, 4, v8
	v_add_f64_e64 v[6:7], v[2:3], -v[6:7]
	s_delay_alu instid0(VALU_DEP_4) | instskip(NEXT) | instid1(VALU_DEP_2)
	v_add_f64_e64 v[4:5], v[0:1], -v[4:5]
	v_fma_f64 v[2:3], v[2:3], 2.0, -v[6:7]
	s_delay_alu instid0(VALU_DEP_2)
	v_fma_f64 v[0:1], v[0:1], 2.0, -v[4:5]
	ds_store_b128 v8, v[0:3]
	ds_store_b128 v8, v[4:7] offset:176
.LBB0_21:
	s_wait_alu 0xfffe
	s_or_b32 exec_lo, exec_lo, s1
	global_wb scope:SCOPE_SE
	s_wait_dscnt 0x0
	s_barrier_signal -1
	s_barrier_wait -1
	global_inv scope:SCOPE_SE
	ds_load_b128 v[0:3], v96 offset:8800
	ds_load_b128 v[4:7], v96 offset:17600
	;; [unrolled: 1-line block ×6, first 2 shown]
	scratch_load_b128 v[68:71], off, off offset:516 th:TH_LOAD_LU ; 16-byte Folded Reload
	ds_load_b128 v[24:27], v96 offset:21120
	ds_load_b128 v[28:31], v96 offset:14080
	;; [unrolled: 1-line block ×5, first 2 shown]
	s_clause 0x2
	scratch_load_b128 v[76:79], off, off offset:420 th:TH_LOAD_LU
	scratch_load_b128 v[72:75], off, off offset:404 th:TH_LOAD_LU
	;; [unrolled: 1-line block ×3, first 2 shown]
	s_mov_b32 s0, 0xe8584caa
	s_mov_b32 s1, 0xbfebb67a
	;; [unrolled: 1-line block ×3, first 2 shown]
	s_wait_alu 0xfffe
	s_mov_b32 s2, s0
	s_mov_b32 s8, 0x134454ff
	;; [unrolled: 1-line block ×4, first 2 shown]
	s_wait_alu 0xfffe
	s_mov_b32 s12, s8
	s_mov_b32 s14, 0x372fe950
	s_wait_dscnt 0xa
	v_mul_f64_e32 v[44:45], v[136:137], v[2:3]
	v_mul_f64_e32 v[46:47], v[136:137], v[0:1]
	s_wait_dscnt 0x9
	v_mul_f64_e32 v[48:49], v[132:133], v[6:7]
	v_mul_f64_e32 v[50:51], v[132:133], v[4:5]
	s_mov_b32 s15, 0x3fd3c6ef
	scratch_load_b128 v[86:89], off, off offset:484 th:TH_LOAD_LU ; 16-byte Folded Reload
	v_fma_f64 v[44:45], v[134:135], v[0:1], v[44:45]
	v_fma_f64 v[46:47], v[134:135], v[2:3], -v[46:47]
	v_fma_f64 v[48:49], v[130:131], v[4:5], v[48:49]
	v_fma_f64 v[50:51], v[130:131], v[6:7], -v[50:51]
	s_wait_loadcnt_dscnt 0x408
	v_mul_f64_e32 v[52:53], v[70:71], v[10:11]
	v_mul_f64_e32 v[54:55], v[70:71], v[8:9]
	s_wait_loadcnt_dscnt 0x305
	v_mul_f64_e32 v[0:1], v[78:79], v[22:23]
	v_mul_f64_e32 v[2:3], v[78:79], v[20:21]
	scratch_load_b128 v[78:81], off, off offset:436 th:TH_LOAD_LU ; 16-byte Folded Reload
	s_wait_loadcnt_dscnt 0x304
	v_mul_f64_e32 v[60:61], v[74:75], v[26:27]
	v_mul_f64_e32 v[62:63], v[74:75], v[24:25]
	s_wait_loadcnt_dscnt 0x100
	v_mul_f64_e32 v[70:71], v[88:89], v[40:41]
	v_fma_f64 v[52:53], v[68:69], v[8:9], v[52:53]
	v_fma_f64 v[54:55], v[68:69], v[10:11], -v[54:55]
	v_mul_f64_e32 v[10:11], v[88:89], v[42:43]
	v_fma_f64 v[20:21], v[76:77], v[20:21], v[0:1]
	v_fma_f64 v[22:23], v[76:77], v[22:23], -v[2:3]
	v_fma_f64 v[24:25], v[72:73], v[24:25], v[60:61]
	v_fma_f64 v[26:27], v[72:73], v[26:27], -v[62:63]
	v_add_f64_e32 v[60:61], v[44:45], v[48:49]
	v_add_f64_e32 v[62:63], v[46:47], v[50:51]
	ds_load_b128 v[0:3], v96
	v_fma_f64 v[42:43], v[86:87], v[42:43], -v[70:71]
	v_fma_f64 v[40:41], v[86:87], v[40:41], v[10:11]
	v_add_f64_e64 v[103:104], v[20:21], -v[24:25]
	v_add_f64_e32 v[70:71], v[22:23], v[26:27]
	v_add_f64_e64 v[101:102], v[22:23], -v[26:27]
	s_wait_loadcnt 0x0
	v_mul_f64_e32 v[4:5], v[80:81], v[30:31]
	v_mul_f64_e32 v[6:7], v[80:81], v[28:29]
	scratch_load_b128 v[80:83], off, off offset:452 th:TH_LOAD_LU ; 16-byte Folded Reload
	v_mul_f64_e32 v[56:57], v[92:93], v[18:19]
	v_mul_f64_e32 v[58:59], v[92:93], v[16:17]
	v_fma_f64 v[28:29], v[78:79], v[28:29], v[4:5]
	v_fma_f64 v[30:31], v[78:79], v[30:31], -v[6:7]
	ds_load_b128 v[4:7], v96 offset:1760
	v_fma_f64 v[56:57], v[90:91], v[16:17], v[56:57]
	v_fma_f64 v[58:59], v[90:91], v[18:19], -v[58:59]
	s_wait_dscnt 0x1
	v_fma_f64 v[60:61], v[60:61], -0.5, v[0:1]
	v_fma_f64 v[62:63], v[62:63], -0.5, v[2:3]
	s_wait_dscnt 0x0
	v_add_f64_e32 v[86:87], v[6:7], v[54:55]
	s_wait_loadcnt 0x0
	v_mul_f64_e32 v[64:65], v[82:83], v[34:35]
	v_mul_f64_e32 v[66:67], v[82:83], v[32:33]
	scratch_load_b128 v[82:85], off, off offset:468 th:TH_LOAD_LU ; 16-byte Folded Reload
	v_fma_f64 v[32:33], v[80:81], v[32:33], v[64:65]
	v_fma_f64 v[34:35], v[80:81], v[34:35], -v[66:67]
	v_add_f64_e32 v[64:65], v[52:53], v[56:57]
	v_add_f64_e32 v[66:67], v[54:55], v[58:59]
	;; [unrolled: 1-line block ×3, first 2 shown]
	v_add_f64_e64 v[44:45], v[44:45], -v[48:49]
	v_add_f64_e64 v[54:55], v[54:55], -v[58:59]
	v_add_f64_e32 v[72:73], v[28:29], v[32:33]
	v_add_f64_e32 v[74:75], v[30:31], v[34:35]
	v_fma_f64 v[64:65], v[64:65], -0.5, v[4:5]
	v_fma_f64 v[66:67], v[66:67], -0.5, v[6:7]
	v_add_f64_e64 v[105:106], v[30:31], -v[34:35]
	v_add_f64_e64 v[107:108], v[28:29], -v[32:33]
	v_add_f64_e32 v[0:1], v[80:81], v[48:49]
	v_add_f64_e32 v[6:7], v[86:87], v[58:59]
	s_wait_loadcnt 0x0
	v_mul_f64_e32 v[8:9], v[84:85], v[38:39]
	v_mul_f64_e32 v[68:69], v[84:85], v[36:37]
	v_add_f64_e32 v[84:85], v[4:5], v[52:53]
	v_add_f64_e64 v[52:53], v[52:53], -v[56:57]
	s_delay_alu instid0(VALU_DEP_4) | instskip(NEXT) | instid1(VALU_DEP_4)
	v_fma_f64 v[36:37], v[82:83], v[36:37], v[8:9]
	v_fma_f64 v[38:39], v[82:83], v[38:39], -v[68:69]
	v_add_f64_e32 v[68:69], v[20:21], v[24:25]
	ds_load_b128 v[8:11], v96 offset:3520
	ds_load_b128 v[16:19], v96 offset:5280
	v_add_f64_e64 v[82:83], v[46:47], -v[50:51]
	v_add_f64_e32 v[46:47], v[2:3], v[46:47]
	v_add_f64_e32 v[4:5], v[84:85], v[56:57]
	global_wb scope:SCOPE_SE
	s_wait_dscnt 0x0
	s_barrier_signal -1
	s_barrier_wait -1
	global_inv scope:SCOPE_SE
	v_add_f64_e32 v[88:89], v[8:9], v[20:21]
	v_add_f64_e32 v[90:91], v[10:11], v[22:23]
	;; [unrolled: 1-line block ×4, first 2 shown]
	v_fma_f64 v[70:71], v[70:71], -0.5, v[10:11]
	v_fma_f64 v[72:73], v[72:73], -0.5, v[16:17]
	;; [unrolled: 1-line block ×3, first 2 shown]
	v_fma_f64 v[22:23], v[44:45], s[2:3], v[62:63]
	v_fma_f64 v[28:29], v[54:55], s[0:1], v[64:65]
	;; [unrolled: 1-line block ×3, first 2 shown]
	v_add_f64_e32 v[76:77], v[36:37], v[40:41]
	v_add_f64_e32 v[78:79], v[38:39], v[42:43]
	v_fma_f64 v[68:69], v[68:69], -0.5, v[8:9]
	v_add_f64_e32 v[97:98], v[12:13], v[36:37]
	v_add_f64_e32 v[99:100], v[14:15], v[38:39]
	v_add_f64_e64 v[109:110], v[38:39], -v[42:43]
	v_add_f64_e64 v[111:112], v[36:37], -v[40:41]
	v_add_f64_e32 v[2:3], v[46:47], v[50:51]
	v_fma_f64 v[20:21], v[82:83], s[0:1], v[60:61]
	v_add_f64_e32 v[8:9], v[88:89], v[24:25]
	v_add_f64_e32 v[10:11], v[90:91], v[26:27]
	v_fma_f64 v[24:25], v[82:83], s[2:3], v[60:61]
	v_fma_f64 v[26:27], v[44:45], s[0:1], v[62:63]
	;; [unrolled: 1-line block ×7, first 2 shown]
	v_fma_f64 v[76:77], v[76:77], -0.5, v[12:13]
	v_fma_f64 v[78:79], v[78:79], -0.5, v[14:15]
	v_add_f64_e32 v[12:13], v[92:93], v[32:33]
	v_add_f64_e32 v[14:15], v[94:95], v[34:35]
	v_fma_f64 v[32:33], v[54:55], s[2:3], v[64:65]
	v_fma_f64 v[34:35], v[52:53], s[0:1], v[66:67]
	v_fma_f64 v[36:37], v[101:102], s[0:1], v[68:69]
	v_add_f64_e32 v[16:17], v[97:98], v[40:41]
	v_add_f64_e32 v[18:19], v[99:100], v[42:43]
	v_fma_f64 v[40:41], v[101:102], s[2:3], v[68:69]
	v_fma_f64 v[42:43], v[103:104], s[0:1], v[70:71]
	;; [unrolled: 1-line block ×6, first 2 shown]
	s_mov_b32 s0, 0x4755a5e
	s_mov_b32 s1, 0xbfe2cf23
	;; [unrolled: 1-line block ×3, first 2 shown]
	s_wait_alu 0xfffe
	s_mov_b32 s2, s0
	ds_store_b128 v152, v[0:3]
	ds_store_b128 v152, v[20:23] offset:352
	ds_store_b128 v152, v[24:27] offset:704
	ds_store_b128 v147, v[4:7]
	ds_store_b128 v147, v[28:31] offset:352
	ds_store_b128 v147, v[32:35] offset:704
	;; [unrolled: 3-line block ×5, first 2 shown]
	global_wb scope:SCOPE_SE
	s_wait_dscnt 0x0
	s_barrier_signal -1
	s_barrier_wait -1
	global_inv scope:SCOPE_SE
	ds_load_b128 v[0:3], v96 offset:5280
	ds_load_b128 v[4:7], v96 offset:10560
	ds_load_b128 v[8:11], v96 offset:15840
	ds_load_b128 v[12:15], v96 offset:21120
	ds_load_b128 v[16:19], v96 offset:7040
	ds_load_b128 v[20:23], v96 offset:12320
	ds_load_b128 v[24:27], v96 offset:17600
	ds_load_b128 v[28:31], v96 offset:22880
	ds_load_b128 v[32:35], v96 offset:3520
	ds_load_b128 v[36:39], v96 offset:8800
	ds_load_b128 v[40:43], v96 offset:14080
	ds_load_b128 v[44:47], v96 offset:19360
	ds_load_b128 v[48:51], v96 offset:24640
	s_wait_dscnt 0xc
	v_mul_f64_e32 v[52:53], v[140:141], v[2:3]
	s_wait_dscnt 0xb
	v_mul_f64_e32 v[56:57], v[144:145], v[6:7]
	;; [unrolled: 2-line block ×3, first 2 shown]
	v_mul_f64_e32 v[60:61], v[144:145], v[4:5]
	v_mul_f64_e32 v[66:67], v[162:163], v[8:9]
	v_mul_f64_e32 v[54:55], v[140:141], v[0:1]
	s_wait_dscnt 0x9
	v_mul_f64_e32 v[62:63], v[158:159], v[14:15]
	v_mul_f64_e32 v[64:65], v[158:159], v[12:13]
	s_wait_dscnt 0x7
	v_mul_f64_e32 v[72:73], v[166:167], v[22:23]
	s_wait_dscnt 0x6
	v_mul_f64_e32 v[74:75], v[178:179], v[26:27]
	v_mul_f64_e32 v[76:77], v[166:167], v[20:21]
	;; [unrolled: 1-line block ×5, first 2 shown]
	s_wait_dscnt 0x5
	v_mul_f64_e32 v[78:79], v[174:175], v[30:31]
	v_mul_f64_e32 v[82:83], v[174:175], v[28:29]
	s_wait_dscnt 0x2
	v_mul_f64_e32 v[88:89], v[186:187], v[42:43]
	s_wait_dscnt 0x1
	v_mul_f64_e32 v[90:91], v[198:199], v[46:47]
	v_mul_f64_e32 v[92:93], v[186:187], v[40:41]
	;; [unrolled: 1-line block ×5, first 2 shown]
	s_wait_dscnt 0x0
	v_mul_f64_e32 v[94:95], v[194:195], v[50:51]
	v_mul_f64_e32 v[99:100], v[194:195], v[48:49]
	v_fma_f64 v[52:53], v[138:139], v[0:1], v[52:53]
	v_fma_f64 v[56:57], v[142:143], v[4:5], v[56:57]
	;; [unrolled: 1-line block ×3, first 2 shown]
	v_fma_f64 v[58:59], v[142:143], v[6:7], -v[60:61]
	v_fma_f64 v[10:11], v[160:161], v[10:11], -v[66:67]
	v_fma_f64 v[54:55], v[138:139], v[2:3], -v[54:55]
	v_fma_f64 v[12:13], v[156:157], v[12:13], v[62:63]
	v_fma_f64 v[14:15], v[156:157], v[14:15], -v[64:65]
	v_fma_f64 v[20:21], v[164:165], v[20:21], v[72:73]
	v_fma_f64 v[24:25], v[176:177], v[24:25], v[74:75]
	v_fma_f64 v[22:23], v[164:165], v[22:23], -v[76:77]
	v_fma_f64 v[26:27], v[176:177], v[26:27], -v[80:81]
	v_fma_f64 v[16:17], v[168:169], v[16:17], v[68:69]
	v_fma_f64 v[18:19], v[168:169], v[18:19], -v[70:71]
	v_fma_f64 v[28:29], v[172:173], v[28:29], v[78:79]
	;; [unrolled: 2-line block ×3, first 2 shown]
	v_fma_f64 v[44:45], v[196:197], v[44:45], v[90:91]
	v_fma_f64 v[42:43], v[184:185], v[42:43], -v[92:93]
	v_fma_f64 v[46:47], v[196:197], v[46:47], -v[97:98]
	v_fma_f64 v[36:37], v[188:189], v[36:37], v[84:85]
	v_fma_f64 v[38:39], v[188:189], v[38:39], -v[86:87]
	v_fma_f64 v[48:49], v[192:193], v[48:49], v[94:95]
	v_fma_f64 v[50:51], v[192:193], v[50:51], -v[99:100]
	ds_load_b128 v[0:3], v96
	ds_load_b128 v[4:7], v96 offset:1760
	global_wb scope:SCOPE_SE
	s_wait_dscnt 0x0
	s_barrier_signal -1
	s_barrier_wait -1
	global_inv scope:SCOPE_SE
	v_add_f64_e64 v[74:75], v[52:53], -v[56:57]
	v_add_f64_e32 v[60:61], v[56:57], v[8:9]
	v_add_f64_e64 v[82:83], v[56:57], -v[52:53]
	v_add_f64_e32 v[68:69], v[58:59], v[10:11]
	;; [unrolled: 2-line block ×3, first 2 shown]
	v_add_f64_e32 v[72:73], v[54:55], v[14:15]
	v_add_f64_e32 v[62:63], v[0:1], v[52:53]
	;; [unrolled: 1-line block ×5, first 2 shown]
	v_add_f64_e64 v[66:67], v[54:55], -v[14:15]
	v_add_f64_e64 v[78:79], v[12:13], -v[8:9]
	v_add_f64_e32 v[80:81], v[16:17], v[28:29]
	v_add_f64_e32 v[88:89], v[18:19], v[30:31]
	v_add_f64_e64 v[86:87], v[8:9], -v[12:13]
	v_add_f64_e32 v[92:93], v[40:41], v[44:45]
	v_add_f64_e64 v[52:53], v[52:53], -v[12:13]
	v_add_f64_e32 v[99:100], v[42:43], v[46:47]
	v_add_f64_e32 v[109:110], v[4:5], v[16:17]
	;; [unrolled: 1-line block ×6, first 2 shown]
	v_add_f64_e64 v[97:98], v[56:57], -v[8:9]
	v_add_f64_e64 v[103:104], v[54:55], -v[58:59]
	;; [unrolled: 1-line block ×3, first 2 shown]
	v_add_f64_e32 v[127:128], v[32:33], v[36:37]
	v_add_f64_e64 v[111:112], v[18:19], -v[30:31]
	v_add_f64_e64 v[115:116], v[16:17], -v[20:21]
	;; [unrolled: 1-line block ×11, first 2 shown]
	v_fma_f64 v[60:61], v[60:61], -0.5, v[0:1]
	v_add_f64_e64 v[18:19], v[22:23], -v[18:19]
	v_fma_f64 v[68:69], v[68:69], -0.5, v[2:3]
	v_add_f64_e64 v[139:140], v[38:39], -v[42:43]
	v_fma_f64 v[0:1], v[64:65], -0.5, v[0:1]
	v_fma_f64 v[2:3], v[72:73], -0.5, v[2:3]
	v_add_f64_e32 v[56:57], v[62:63], v[56:57]
	v_fma_f64 v[76:77], v[76:77], -0.5, v[4:5]
	v_add_f64_e32 v[58:59], v[90:91], v[58:59]
	v_fma_f64 v[84:85], v[84:85], -0.5, v[6:7]
	v_add_f64_e64 v[72:73], v[26:27], -v[30:31]
	v_add_f64_e64 v[38:39], v[42:43], -v[38:39]
	v_fma_f64 v[4:5], v[80:81], -0.5, v[4:5]
	v_fma_f64 v[6:7], v[88:89], -0.5, v[6:7]
	v_add_f64_e64 v[80:81], v[42:43], -v[46:47]
	v_fma_f64 v[92:93], v[92:93], -0.5, v[32:33]
	v_add_f64_e32 v[62:63], v[74:75], v[78:79]
	v_fma_f64 v[99:100], v[99:100], -0.5, v[34:35]
	v_add_f64_e32 v[74:75], v[82:83], v[86:87]
	v_add_f64_e32 v[20:21], v[109:110], v[20:21]
	v_fma_f64 v[32:33], v[94:95], -0.5, v[32:33]
	v_add_f64_e64 v[94:95], v[40:41], -v[44:45]
	v_fma_f64 v[34:35], v[101:102], -0.5, v[34:35]
	v_add_f64_e32 v[22:23], v[123:124], v[22:23]
	v_add_f64_e32 v[42:43], v[129:130], v[42:43]
	v_add_f64_e64 v[117:118], v[28:29], -v[24:25]
	v_add_f64_e64 v[121:122], v[24:25], -v[28:29]
	v_add_f64_e64 v[135:136], v[36:37], -v[40:41]
	v_add_f64_e64 v[36:37], v[40:41], -v[36:37]
	v_add_f64_e64 v[143:144], v[46:47], -v[50:51]
	v_add_f64_e32 v[78:79], v[103:104], v[105:106]
	v_add_f64_e32 v[40:41], v[127:128], v[40:41]
	v_add_f64_e64 v[101:102], v[44:45], -v[48:49]
	v_add_f64_e64 v[64:65], v[30:31], -v[26:27]
	v_add_f64_e32 v[54:55], v[54:55], v[107:108]
	v_add_f64_e64 v[88:89], v[48:49], -v[44:45]
	v_add_f64_e64 v[141:142], v[50:51], -v[46:47]
	v_fma_f64 v[82:83], v[66:67], s[8:9], v[60:61]
	v_fma_f64 v[60:61], v[66:67], s[12:13], v[60:61]
	;; [unrolled: 1-line block ×24, first 2 shown]
	v_add_f64_e32 v[8:9], v[56:57], v[8:9]
	v_add_f64_e32 v[10:11], v[58:59], v[10:11]
	;; [unrolled: 1-line block ×14, first 2 shown]
	v_fma_f64 v[26:27], v[70:71], s[0:1], v[82:83]
	s_wait_alu 0xfffe
	v_fma_f64 v[36:37], v[70:71], s[2:3], v[60:61]
	v_fma_f64 v[42:43], v[97:98], s[2:3], v[90:91]
	;; [unrolled: 1-line block ×23, first 2 shown]
	v_add_f64_e32 v[0:1], v[8:9], v[12:13]
	v_add_f64_e32 v[2:3], v[10:11], v[14:15]
	v_add_f64_e32 v[4:5], v[18:19], v[28:29]
	v_add_f64_e32 v[6:7], v[20:21], v[30:31]
	v_add_f64_e32 v[10:11], v[24:25], v[50:51]
	v_add_f64_e32 v[8:9], v[22:23], v[48:49]
	v_fma_f64 v[12:13], v[62:63], s[14:15], v[26:27]
	v_fma_f64 v[16:17], v[62:63], s[14:15], v[36:37]
	;; [unrolled: 1-line block ×24, first 2 shown]
	ds_store_b128 v155, v[0:3]
	ds_store_b128 v155, v[12:15] offset:1056
	ds_store_b128 v155, v[20:23] offset:2112
	ds_store_b128 v155, v[24:27] offset:3168
	ds_store_b128 v155, v[16:19] offset:4224
	ds_store_b128 v154, v[4:7]
	ds_store_b128 v154, v[28:31] offset:1056
	ds_store_b128 v154, v[36:39] offset:2112
	ds_store_b128 v154, v[40:43] offset:3168
	ds_store_b128 v154, v[32:35] offset:4224
	;; [unrolled: 5-line block ×3, first 2 shown]
	global_wb scope:SCOPE_SE
	s_wait_dscnt 0x0
	s_barrier_signal -1
	s_barrier_wait -1
	global_inv scope:SCOPE_SE
	ds_load_b128 v[0:3], v96 offset:5280
	ds_load_b128 v[4:7], v96 offset:10560
	;; [unrolled: 1-line block ×13, first 2 shown]
	scratch_load_b128 v[101:104], off, off offset:532 th:TH_LOAD_LU ; 16-byte Folded Reload
	s_wait_dscnt 0xb
	v_mul_f64_e32 v[56:57], v[182:183], v[6:7]
	s_wait_dscnt 0xa
	v_mul_f64_e32 v[60:61], v[206:207], v[10:11]
	v_mul_f64_e32 v[58:59], v[182:183], v[4:5]
	s_wait_dscnt 0x8
	v_mul_f64_e32 v[68:69], v[214:215], v[18:19]
	s_wait_dscnt 0x7
	;; [unrolled: 2-line block ×4, first 2 shown]
	v_mul_f64_e32 v[80:81], v[218:219], v[30:31]
	v_mul_f64_e32 v[70:71], v[214:215], v[16:17]
	;; [unrolled: 1-line block ×8, first 2 shown]
	s_wait_dscnt 0x3
	v_mul_f64_e32 v[84:85], v[230:231], v[38:39]
	v_mul_f64_e32 v[86:87], v[230:231], v[36:37]
	s_wait_dscnt 0x2
	v_mul_f64_e32 v[88:89], v[226:227], v[42:43]
	v_mul_f64_e32 v[90:91], v[226:227], v[40:41]
	;; [unrolled: 3-line block ×4, first 2 shown]
	v_fma_f64 v[56:57], v[180:181], v[4:5], v[56:57]
	v_fma_f64 v[8:9], v[204:205], v[8:9], v[60:61]
	v_fma_f64 v[58:59], v[180:181], v[6:7], -v[58:59]
	v_fma_f64 v[16:17], v[212:213], v[16:17], v[68:69]
	v_fma_f64 v[20:21], v[208:209], v[20:21], v[72:73]
	;; [unrolled: 1-line block ×4, first 2 shown]
	v_fma_f64 v[18:19], v[212:213], v[18:19], -v[70:71]
	v_fma_f64 v[22:23], v[208:209], v[22:23], -v[74:75]
	;; [unrolled: 1-line block ×5, first 2 shown]
	v_fma_f64 v[12:13], v[200:201], v[12:13], v[64:65]
	v_fma_f64 v[14:15], v[200:201], v[14:15], -v[66:67]
	v_fma_f64 v[36:37], v[228:229], v[36:37], v[84:85]
	v_fma_f64 v[38:39], v[228:229], v[38:39], -v[86:87]
	;; [unrolled: 2-line block ×5, first 2 shown]
	ds_load_b128 v[4:7], v96 offset:1760
	v_add_f64_e32 v[60:61], v[56:57], v[8:9]
	v_add_f64_e64 v[115:116], v[16:17], -v[20:21]
	v_add_f64_e32 v[76:77], v[20:21], v[24:25]
	v_add_f64_e32 v[80:81], v[16:17], v[28:29]
	v_add_f64_e64 v[119:120], v[20:21], -v[16:17]
	v_add_f64_e64 v[117:118], v[28:29], -v[24:25]
	v_add_f64_e32 v[86:87], v[22:23], v[26:27]
	v_add_f64_e32 v[84:85], v[18:19], v[30:31]
	;; [unrolled: 1-line block ×3, first 2 shown]
	v_add_f64_e64 v[78:79], v[12:13], -v[8:9]
	v_add_f64_e64 v[88:89], v[8:9], -v[12:13]
	;; [unrolled: 1-line block ×6, first 2 shown]
	v_add_f64_e32 v[92:93], v[40:41], v[44:45]
	v_add_f64_e32 v[94:95], v[42:43], v[46:47]
	;; [unrolled: 1-line block ×4, first 2 shown]
	v_add_f64_e64 v[70:71], v[58:59], -v[10:11]
	v_add_f64_e64 v[121:122], v[24:25], -v[28:29]
	v_add_f64_e64 v[125:126], v[20:21], -v[24:25]
	v_add_f64_e32 v[127:128], v[32:33], v[36:37]
	v_add_f64_e32 v[129:130], v[34:35], v[38:39]
	v_add_f64_e64 v[135:136], v[36:37], -v[48:49]
	v_add_f64_e64 v[131:132], v[18:19], -v[22:23]
	;; [unrolled: 1-line block ×8, first 2 shown]
	s_wait_dscnt 0x0
	v_add_f64_e32 v[109:110], v[4:5], v[16:17]
	v_add_f64_e32 v[123:124], v[6:7], v[18:19]
	v_add_f64_e64 v[16:17], v[16:17], -v[28:29]
	v_add_f64_e64 v[18:19], v[22:23], -v[18:19]
	v_fma_f64 v[76:77], v[76:77], -0.5, v[4:5]
	v_fma_f64 v[4:5], v[80:81], -0.5, v[4:5]
	v_add_f64_e64 v[80:81], v[42:43], -v[46:47]
	v_add_f64_e32 v[115:116], v[115:116], v[117:118]
	v_fma_f64 v[84:85], v[84:85], -0.5, v[6:7]
	v_fma_f64 v[6:7], v[86:87], -0.5, v[6:7]
	v_add_f64_e64 v[86:87], v[36:37], -v[40:41]
	v_add_f64_e64 v[36:37], v[40:41], -v[36:37]
	v_fma_f64 v[92:93], v[92:93], -0.5, v[32:33]
	v_fma_f64 v[94:95], v[94:95], -0.5, v[34:35]
	;; [unrolled: 1-line block ×4, first 2 shown]
	v_add_f64_e64 v[97:98], v[48:49], -v[44:45]
	v_add_f64_e64 v[99:100], v[44:45], -v[48:49]
	v_add_f64_e32 v[117:118], v[119:120], v[121:122]
	v_add_f64_e32 v[40:41], v[127:128], v[40:41]
	;; [unrolled: 1-line block ×6, first 2 shown]
	v_fma_f64 v[109:110], v[125:126], s[8:9], v[84:85]
	v_fma_f64 v[123:124], v[16:17], s[12:13], v[6:7]
	;; [unrolled: 1-line block ×8, first 2 shown]
	v_add_f64_e32 v[86:87], v[86:87], v[97:98]
	v_add_f64_e32 v[97:98], v[36:37], v[99:100]
	v_fma_f64 v[34:35], v[137:138], s[12:13], v[34:35]
	v_fma_f64 v[145:146], v[80:81], s[12:13], v[32:33]
	;; [unrolled: 1-line block ×4, first 2 shown]
	v_add_f64_e32 v[99:100], v[139:140], v[141:142]
	s_delay_alu instid0(VALU_DEP_2) | instskip(SKIP_3) | instid1(VALU_DEP_2)
	v_fma_f64 v[94:95], v[137:138], s[0:1], v[94:95]
	s_wait_loadcnt 0x0
	v_mul_f64_e32 v[52:53], v[103:104], v[2:3]
	v_mul_f64_e32 v[54:55], v[103:104], v[0:1]
	v_fma_f64 v[52:53], v[101:102], v[0:1], v[52:53]
	s_delay_alu instid0(VALU_DEP_2)
	v_fma_f64 v[54:55], v[101:102], v[2:3], -v[54:55]
	ds_load_b128 v[0:3], v96
	v_add_f64_e64 v[101:102], v[56:57], -v[8:9]
	s_wait_dscnt 0x0
	v_fma_f64 v[60:61], v[60:61], -0.5, v[0:1]
	v_fma_f64 v[68:69], v[68:69], -0.5, v[2:3]
	v_add_f64_e32 v[62:63], v[0:1], v[52:53]
	v_add_f64_e64 v[66:67], v[54:55], -v[14:15]
	v_add_f64_e32 v[72:73], v[54:55], v[14:15]
	v_add_f64_e64 v[74:75], v[52:53], -v[56:57]
	v_add_f64_e64 v[82:83], v[56:57], -v[52:53]
	v_add_f64_e32 v[90:91], v[2:3], v[54:55]
	v_add_f64_e64 v[103:104], v[54:55], -v[58:59]
	;; [unrolled: 3-line block ×3, first 2 shown]
	v_add_f64_e32 v[56:57], v[62:63], v[56:57]
	v_fma_f64 v[2:3], v[72:73], -0.5, v[2:3]
	v_add_f64_e32 v[62:63], v[74:75], v[78:79]
	v_add_f64_e32 v[74:75], v[82:83], v[88:89]
	v_fma_f64 v[82:83], v[66:67], s[8:9], v[60:61]
	v_fma_f64 v[60:61], v[66:67], s[12:13], v[60:61]
	v_add_f64_e32 v[54:55], v[54:55], v[107:108]
	v_fma_f64 v[107:108], v[113:114], s[12:13], v[4:5]
	v_fma_f64 v[0:1], v[64:65], -0.5, v[0:1]
	v_add_f64_e64 v[64:65], v[30:31], -v[26:27]
	v_add_f64_e64 v[72:73], v[26:27], -v[30:31]
	v_add_f64_e32 v[58:59], v[90:91], v[58:59]
	v_add_f64_e32 v[78:79], v[103:104], v[105:106]
	v_fma_f64 v[105:106], v[111:112], s[8:9], v[76:77]
	v_fma_f64 v[76:77], v[111:112], s[12:13], v[76:77]
	;; [unrolled: 1-line block ×5, first 2 shown]
	v_add_f64_e32 v[8:9], v[56:57], v[8:9]
	v_fma_f64 v[103:104], v[101:102], s[8:9], v[2:3]
	v_fma_f64 v[2:3], v[101:102], s[12:13], v[2:3]
	;; [unrolled: 1-line block ×6, first 2 shown]
	v_add_f64_e32 v[64:65], v[131:132], v[64:65]
	v_add_f64_e32 v[72:73], v[18:19], v[72:73]
	;; [unrolled: 1-line block ×5, first 2 shown]
	v_fma_f64 v[26:27], v[70:71], s[0:1], v[82:83]
	v_fma_f64 v[58:59], v[113:114], s[2:3], v[76:77]
	v_fma_f64 v[70:71], v[125:126], s[2:3], v[123:124]
	v_fma_f64 v[76:77], v[125:126], s[0:1], v[6:7]
	v_add_f64_e32 v[22:23], v[40:41], v[44:45]
	v_fma_f64 v[44:45], v[101:102], s[0:1], v[68:69]
	v_fma_f64 v[68:69], v[16:17], s[2:3], v[109:110]
	v_fma_f64 v[82:83], v[16:17], s[0:1], v[84:85]
	v_add_f64_e32 v[24:25], v[42:43], v[46:47]
	v_fma_f64 v[42:43], v[101:102], s[2:3], v[90:91]
	v_fma_f64 v[56:57], v[113:114], s[0:1], v[105:106]
	;; [unrolled: 1-line block ×12, first 2 shown]
	scratch_load_b64 v[60:61], off, off offset:220 th:TH_LOAD_LU ; 8-byte Folded Reload
	v_fma_f64 v[38:39], v[66:67], s[0:1], v[88:89]
	v_fma_f64 v[88:89], v[137:138], s[2:3], v[129:130]
	;; [unrolled: 1-line block ×4, first 2 shown]
	v_add_f64_e32 v[0:1], v[8:9], v[12:13]
	v_add_f64_e32 v[6:7], v[20:21], v[30:31]
	;; [unrolled: 1-line block ×4, first 2 shown]
	v_fma_f64 v[30:31], v[64:65], s[14:15], v[70:71]
	v_fma_f64 v[34:35], v[64:65], s[14:15], v[76:77]
	scratch_load_b32 v64, off, off offset:200 th:TH_LOAD_LU ; 4-byte Folded Reload
	v_add_f64_e32 v[8:9], v[22:23], v[48:49]
	v_fma_f64 v[18:19], v[78:79], s[14:15], v[44:45]
	v_fma_f64 v[32:33], v[115:116], s[14:15], v[58:59]
	;; [unrolled: 1-line block ×4, first 2 shown]
	v_add_f64_e32 v[10:11], v[24:25], v[50:51]
	v_fma_f64 v[28:29], v[115:116], s[14:15], v[56:57]
	v_fma_f64 v[44:45], v[86:87], s[14:15], v[84:85]
	;; [unrolled: 1-line block ×6, first 2 shown]
	s_mul_u64 s[2:3], s[4:5], 0x96
	s_wait_alu 0xfffe
	s_lshl_b64 s[2:3], s[2:3], 4
	v_fma_f64 v[22:23], v[54:55], s[14:15], v[46:47]
	v_fma_f64 v[58:59], v[119:120], s[14:15], v[103:104]
	;; [unrolled: 1-line block ×10, first 2 shown]
	ds_store_b128 v96, v[0:3]
	ds_store_b128 v96, v[4:7] offset:1760
	ds_store_b128 v96, v[20:23] offset:10560
	;; [unrolled: 1-line block ×14, first 2 shown]
	global_wb scope:SCOPE_SE
	s_wait_loadcnt_dscnt 0x0
	s_barrier_signal -1
	s_barrier_wait -1
	global_inv scope:SCOPE_SE
	ds_load_b128 v[0:3], v96
	ds_load_b128 v[4:7], v96 offset:2400
	ds_load_b128 v[8:11], v96 offset:4800
	;; [unrolled: 1-line block ×5, first 2 shown]
	v_mov_b32_e32 v65, v60
	s_delay_alu instid0(VALU_DEP_1) | instskip(SKIP_1) | instid1(VALU_DEP_1)
	v_mad_co_u64_u32 v[60:61], null, s6, v65, 0
	v_mad_co_u64_u32 v[62:63], null, s4, v64, 0
	;; [unrolled: 1-line block ×3, first 2 shown]
	s_delay_alu instid0(VALU_DEP_2) | instskip(SKIP_2) | instid1(VALU_DEP_2)
	v_mad_co_u64_u32 v[32:33], null, s5, v64, v[63:64]
	s_mov_b32 s6, 0x3dc013dc
	s_mov_b32 s7, 0x3f43dc01
	v_mov_b32_e32 v61, v24
	ds_load_b128 v[24:27], v96 offset:14400
	ds_load_b128 v[28:31], v96 offset:16800
	v_mov_b32_e32 v63, v32
	ds_load_b128 v[32:35], v96 offset:19200
	ds_load_b128 v[36:39], v96 offset:21600
	ds_load_b128 v[40:43], v96 offset:24000
	s_clause 0x1
	scratch_load_b128 v[97:100], off, off offset:104 th:TH_LOAD_LU
	scratch_load_b128 v[117:120], off, off offset:260 th:TH_LOAD_LU
	v_lshlrev_b64_e32 v[44:45], 4, v[60:61]
	v_lshlrev_b64_e32 v[62:63], 4, v[62:63]
	s_delay_alu instid0(VALU_DEP_2) | instskip(SKIP_1) | instid1(VALU_DEP_3)
	v_add_co_u32 v44, s0, s10, v44
	s_wait_alu 0xf1ff
	v_add_co_ci_u32_e64 v45, s0, s11, v45, s0
	s_delay_alu instid0(VALU_DEP_2) | instskip(SKIP_1) | instid1(VALU_DEP_2)
	v_add_co_u32 v62, s0, v44, v62
	s_wait_alu 0xf1ff
	v_add_co_ci_u32_e64 v63, s0, v45, v63, s0
	s_wait_alu 0xfffe
	s_delay_alu instid0(VALU_DEP_2) | instskip(SKIP_1) | instid1(VALU_DEP_2)
	v_add_co_u32 v92, s0, v62, s2
	s_wait_alu 0xf1ff
	v_add_co_ci_u32_e64 v93, s0, s3, v63, s0
	s_wait_loadcnt_dscnt 0x10a
	v_mul_f64_e32 v[46:47], v[99:100], v[2:3]
	v_mul_f64_e32 v[48:49], v[99:100], v[0:1]
	scratch_load_b128 v[99:102], off, off offset:120 th:TH_LOAD_LU ; 16-byte Folded Reload
	s_wait_loadcnt_dscnt 0x102
	v_mul_f64_e32 v[80:81], v[119:120], v[34:35]
	v_mul_f64_e32 v[82:83], v[119:120], v[32:33]
	scratch_load_b128 v[119:122], off, off offset:276 th:TH_LOAD_LU ; 16-byte Folded Reload
	v_fma_f64 v[0:1], v[97:98], v[0:1], v[46:47]
	v_fma_f64 v[44:45], v[97:98], v[2:3], -v[48:49]
	s_delay_alu instid0(VALU_DEP_2)
	v_mul_f64_e32 v[2:3], s[6:7], v[0:1]
	s_wait_loadcnt 0x1
	v_mul_f64_e32 v[50:51], v[101:102], v[6:7]
	v_mul_f64_e32 v[52:53], v[101:102], v[4:5]
	scratch_load_b128 v[101:104], off, off offset:136 th:TH_LOAD_LU ; 16-byte Folded Reload
	s_wait_loadcnt_dscnt 0x100
	v_mul_f64_e32 v[88:89], v[121:122], v[42:43]
	v_mul_f64_e32 v[90:91], v[121:122], v[40:41]
	v_fma_f64 v[46:47], v[99:100], v[4:5], v[50:51]
	v_fma_f64 v[48:49], v[99:100], v[6:7], -v[52:53]
	v_mul_f64_e32 v[4:5], s[6:7], v[44:45]
	s_delay_alu instid0(VALU_DEP_3)
	v_mul_f64_e32 v[6:7], s[6:7], v[46:47]
	s_wait_loadcnt 0x0
	v_mul_f64_e32 v[54:55], v[103:104], v[10:11]
	v_mul_f64_e32 v[56:57], v[103:104], v[8:9]
	scratch_load_b128 v[103:106], off, off offset:152 th:TH_LOAD_LU ; 16-byte Folded Reload
	v_fma_f64 v[50:51], v[101:102], v[8:9], v[54:55]
	v_fma_f64 v[52:53], v[101:102], v[10:11], -v[56:57]
	v_mul_f64_e32 v[8:9], s[6:7], v[48:49]
	s_delay_alu instid0(VALU_DEP_3)
	v_mul_f64_e32 v[10:11], s[6:7], v[50:51]
	s_wait_loadcnt 0x0
	v_mul_f64_e32 v[58:59], v[105:106], v[14:15]
	v_mul_f64_e32 v[60:61], v[105:106], v[12:13]
	scratch_load_b128 v[105:108], off, off offset:168 th:TH_LOAD_LU ; 16-byte Folded Reload
	;; [unrolled: 9-line block ×6, first 2 shown]
	v_fma_f64 v[72:73], v[111:112], v[28:29], v[76:77]
	v_fma_f64 v[74:75], v[111:112], v[30:31], -v[78:79]
	v_fma_f64 v[76:77], v[117:118], v[32:33], v[80:81]
	v_fma_f64 v[78:79], v[117:118], v[34:35], -v[82:83]
	v_mul_f64_e32 v[28:29], s[6:7], v[70:71]
	v_mul_f64_e32 v[30:31], s[6:7], v[72:73]
	;; [unrolled: 1-line block ×4, first 2 shown]
	s_wait_loadcnt 0x0
	v_mul_f64_e32 v[84:85], v[115:116], v[38:39]
	v_mul_f64_e32 v[86:87], v[115:116], v[36:37]
	s_delay_alu instid0(VALU_DEP_2) | instskip(NEXT) | instid1(VALU_DEP_2)
	v_fma_f64 v[80:81], v[113:114], v[36:37], v[84:85]
	v_fma_f64 v[82:83], v[113:114], v[38:39], -v[86:87]
	v_fma_f64 v[84:85], v[119:120], v[40:41], v[88:89]
	v_fma_f64 v[86:87], v[119:120], v[42:43], -v[90:91]
	v_add_co_u32 v88, s0, v92, s2
	s_wait_alu 0xf1ff
	v_add_co_ci_u32_e64 v89, s0, s3, v93, s0
	v_mul_f64_e32 v[36:37], s[6:7], v[78:79]
	s_delay_alu instid0(VALU_DEP_3) | instskip(SKIP_1) | instid1(VALU_DEP_3)
	v_add_co_u32 v90, s0, v88, s2
	s_wait_alu 0xf1ff
	v_add_co_ci_u32_e64 v91, s0, s3, v89, s0
	s_delay_alu instid0(VALU_DEP_2) | instskip(SKIP_1) | instid1(VALU_DEP_2)
	v_add_co_u32 v94, s0, v90, s2
	s_wait_alu 0xf1ff
	v_add_co_ci_u32_e64 v95, s0, s3, v91, s0
	s_delay_alu instid0(VALU_DEP_2) | instskip(SKIP_1) | instid1(VALU_DEP_2)
	;; [unrolled: 4-line block ×5, first 2 shown]
	v_add_co_u32 v52, s0, v50, s2
	s_wait_alu 0xf1ff
	v_add_co_ci_u32_e64 v53, s0, s3, v51, s0
	v_mul_f64_e32 v[38:39], s[6:7], v[80:81]
	v_mul_f64_e32 v[40:41], s[6:7], v[82:83]
	;; [unrolled: 1-line block ×4, first 2 shown]
	v_add_co_u32 v54, s0, v52, s2
	s_wait_alu 0xf1ff
	v_add_co_ci_u32_e64 v55, s0, s3, v53, s0
	s_delay_alu instid0(VALU_DEP_2) | instskip(SKIP_1) | instid1(VALU_DEP_2)
	v_add_co_u32 v0, s0, v54, s2
	s_wait_alu 0xf1ff
	v_add_co_ci_u32_e64 v1, s0, s3, v55, s0
	s_clause 0x4
	global_store_b128 v[62:63], v[2:5], off
	global_store_b128 v[92:93], v[6:9], off
	;; [unrolled: 1-line block ×11, first 2 shown]
	s_and_b32 exec_lo, exec_lo, vcc_lo
	s_cbranch_execz .LBB0_23
; %bb.22:
	scratch_load_b64 v[16:17], off, off th:TH_LOAD_LU ; 8-byte Folded Reload
	s_mul_i32 s0, s5, 0xffffa920
	s_wait_alu 0xfffe
	s_sub_co_i32 s0, s0, s4
	s_wait_loadcnt 0x0
	global_load_b128 v[2:5], v[16:17], off offset:1760
	ds_load_b128 v[6:9], v96 offset:1760
	ds_load_b128 v[10:13], v96 offset:4160
	s_wait_loadcnt_dscnt 0x1
	v_mul_f64_e32 v[14:15], v[8:9], v[4:5]
	v_mul_f64_e32 v[4:5], v[6:7], v[4:5]
	s_delay_alu instid0(VALU_DEP_2) | instskip(NEXT) | instid1(VALU_DEP_2)
	v_fma_f64 v[6:7], v[6:7], v[2:3], v[14:15]
	v_fma_f64 v[4:5], v[2:3], v[8:9], -v[4:5]
	s_delay_alu instid0(VALU_DEP_2) | instskip(NEXT) | instid1(VALU_DEP_2)
	v_mul_f64_e32 v[2:3], s[6:7], v[6:7]
	v_mul_f64_e32 v[4:5], s[6:7], v[4:5]
	v_mad_co_u64_u32 v[6:7], null, 0xffffa920, s4, v[0:1]
	s_wait_alu 0xfffe
	s_delay_alu instid0(VALU_DEP_1)
	v_add_nc_u32_e32 v7, s0, v7
	global_store_b128 v[6:7], v[2:5], off
	global_load_b128 v[0:3], v[16:17], off offset:4160
	s_wait_loadcnt_dscnt 0x0
	v_mul_f64_e32 v[4:5], v[12:13], v[2:3]
	v_mul_f64_e32 v[2:3], v[10:11], v[2:3]
	s_delay_alu instid0(VALU_DEP_2) | instskip(NEXT) | instid1(VALU_DEP_2)
	v_fma_f64 v[4:5], v[10:11], v[0:1], v[4:5]
	v_fma_f64 v[2:3], v[0:1], v[12:13], -v[2:3]
	v_add_co_u32 v12, vcc_lo, v6, s2
	s_wait_alu 0xfffd
	v_add_co_ci_u32_e32 v13, vcc_lo, s3, v7, vcc_lo
	s_delay_alu instid0(VALU_DEP_4) | instskip(NEXT) | instid1(VALU_DEP_4)
	v_mul_f64_e32 v[0:1], s[6:7], v[4:5]
	v_mul_f64_e32 v[2:3], s[6:7], v[2:3]
	global_store_b128 v[12:13], v[0:3], off
	global_load_b128 v[0:3], v[16:17], off offset:6560
	ds_load_b128 v[4:7], v96 offset:6560
	ds_load_b128 v[8:11], v96 offset:8960
	s_wait_loadcnt_dscnt 0x1
	v_mul_f64_e32 v[14:15], v[6:7], v[2:3]
	v_mul_f64_e32 v[2:3], v[4:5], v[2:3]
	s_delay_alu instid0(VALU_DEP_2) | instskip(NEXT) | instid1(VALU_DEP_2)
	v_fma_f64 v[4:5], v[4:5], v[0:1], v[14:15]
	v_fma_f64 v[2:3], v[0:1], v[6:7], -v[2:3]
	s_delay_alu instid0(VALU_DEP_2) | instskip(NEXT) | instid1(VALU_DEP_2)
	v_mul_f64_e32 v[0:1], s[6:7], v[4:5]
	v_mul_f64_e32 v[2:3], s[6:7], v[2:3]
	v_add_co_u32 v4, vcc_lo, v12, s2
	s_wait_alu 0xfffd
	v_add_co_ci_u32_e32 v5, vcc_lo, s3, v13, vcc_lo
	s_delay_alu instid0(VALU_DEP_2) | instskip(SKIP_1) | instid1(VALU_DEP_2)
	v_add_co_u32 v12, vcc_lo, v4, s2
	s_wait_alu 0xfffd
	v_add_co_ci_u32_e32 v13, vcc_lo, s3, v5, vcc_lo
	global_store_b128 v[4:5], v[0:3], off
	global_load_b128 v[0:3], v[16:17], off offset:8960
	s_wait_loadcnt_dscnt 0x0
	v_mul_f64_e32 v[6:7], v[10:11], v[2:3]
	v_mul_f64_e32 v[2:3], v[8:9], v[2:3]
	s_delay_alu instid0(VALU_DEP_2) | instskip(NEXT) | instid1(VALU_DEP_2)
	v_fma_f64 v[6:7], v[8:9], v[0:1], v[6:7]
	v_fma_f64 v[2:3], v[0:1], v[10:11], -v[2:3]
	s_delay_alu instid0(VALU_DEP_2) | instskip(NEXT) | instid1(VALU_DEP_2)
	v_mul_f64_e32 v[0:1], s[6:7], v[6:7]
	v_mul_f64_e32 v[2:3], s[6:7], v[2:3]
	global_store_b128 v[12:13], v[0:3], off
	global_load_b128 v[0:3], v[16:17], off offset:11360
	ds_load_b128 v[4:7], v96 offset:11360
	ds_load_b128 v[8:11], v96 offset:13760
	s_wait_loadcnt_dscnt 0x1
	v_mul_f64_e32 v[14:15], v[6:7], v[2:3]
	v_mul_f64_e32 v[2:3], v[4:5], v[2:3]
	s_delay_alu instid0(VALU_DEP_2) | instskip(NEXT) | instid1(VALU_DEP_2)
	v_fma_f64 v[4:5], v[4:5], v[0:1], v[14:15]
	v_fma_f64 v[2:3], v[0:1], v[6:7], -v[2:3]
	s_delay_alu instid0(VALU_DEP_2) | instskip(NEXT) | instid1(VALU_DEP_2)
	v_mul_f64_e32 v[0:1], s[6:7], v[4:5]
	v_mul_f64_e32 v[2:3], s[6:7], v[2:3]
	v_add_co_u32 v4, vcc_lo, v12, s2
	s_wait_alu 0xfffd
	v_add_co_ci_u32_e32 v5, vcc_lo, s3, v13, vcc_lo
	s_delay_alu instid0(VALU_DEP_2) | instskip(SKIP_1) | instid1(VALU_DEP_2)
	v_add_co_u32 v12, vcc_lo, v4, s2
	s_wait_alu 0xfffd
	v_add_co_ci_u32_e32 v13, vcc_lo, s3, v5, vcc_lo
	global_store_b128 v[4:5], v[0:3], off
	global_load_b128 v[0:3], v[16:17], off offset:13760
	s_wait_loadcnt_dscnt 0x0
	v_mul_f64_e32 v[6:7], v[10:11], v[2:3]
	v_mul_f64_e32 v[2:3], v[8:9], v[2:3]
	s_delay_alu instid0(VALU_DEP_2) | instskip(NEXT) | instid1(VALU_DEP_2)
	v_fma_f64 v[6:7], v[8:9], v[0:1], v[6:7]
	v_fma_f64 v[2:3], v[0:1], v[10:11], -v[2:3]
	s_delay_alu instid0(VALU_DEP_2) | instskip(NEXT) | instid1(VALU_DEP_2)
	;; [unrolled: 31-line block ×3, first 2 shown]
	v_mul_f64_e32 v[0:1], s[6:7], v[6:7]
	v_mul_f64_e32 v[2:3], s[6:7], v[2:3]
	global_store_b128 v[12:13], v[0:3], off
	global_load_b128 v[0:3], v[16:17], off offset:20960
	ds_load_b128 v[4:7], v96 offset:20960
	ds_load_b128 v[8:11], v96 offset:23360
	s_wait_loadcnt_dscnt 0x1
	v_mul_f64_e32 v[14:15], v[6:7], v[2:3]
	v_mul_f64_e32 v[2:3], v[4:5], v[2:3]
	s_delay_alu instid0(VALU_DEP_2) | instskip(NEXT) | instid1(VALU_DEP_2)
	v_fma_f64 v[4:5], v[4:5], v[0:1], v[14:15]
	v_fma_f64 v[2:3], v[0:1], v[6:7], -v[2:3]
	s_delay_alu instid0(VALU_DEP_2) | instskip(NEXT) | instid1(VALU_DEP_2)
	v_mul_f64_e32 v[0:1], s[6:7], v[4:5]
	v_mul_f64_e32 v[2:3], s[6:7], v[2:3]
	v_add_co_u32 v4, vcc_lo, v12, s2
	s_wait_alu 0xfffd
	v_add_co_ci_u32_e32 v5, vcc_lo, s3, v13, vcc_lo
	global_store_b128 v[4:5], v[0:3], off
	global_load_b128 v[0:3], v[16:17], off offset:23360
	s_wait_loadcnt_dscnt 0x0
	v_mul_f64_e32 v[6:7], v[10:11], v[2:3]
	v_mul_f64_e32 v[2:3], v[8:9], v[2:3]
	s_delay_alu instid0(VALU_DEP_2) | instskip(NEXT) | instid1(VALU_DEP_2)
	v_fma_f64 v[6:7], v[8:9], v[0:1], v[6:7]
	v_fma_f64 v[2:3], v[0:1], v[10:11], -v[2:3]
	v_add_co_u32 v8, vcc_lo, v4, s2
	s_wait_alu 0xfffd
	v_add_co_ci_u32_e32 v9, vcc_lo, s3, v5, vcc_lo
	s_delay_alu instid0(VALU_DEP_4) | instskip(NEXT) | instid1(VALU_DEP_4)
	v_mul_f64_e32 v[0:1], s[6:7], v[6:7]
	v_mul_f64_e32 v[2:3], s[6:7], v[2:3]
	ds_load_b128 v[4:7], v96 offset:25760
	global_store_b128 v[8:9], v[0:3], off
	global_load_b128 v[0:3], v[16:17], off offset:25760
	s_wait_loadcnt_dscnt 0x0
	v_mul_f64_e32 v[10:11], v[6:7], v[2:3]
	v_mul_f64_e32 v[2:3], v[4:5], v[2:3]
	s_delay_alu instid0(VALU_DEP_2) | instskip(NEXT) | instid1(VALU_DEP_2)
	v_fma_f64 v[4:5], v[4:5], v[0:1], v[10:11]
	v_fma_f64 v[2:3], v[0:1], v[6:7], -v[2:3]
	s_delay_alu instid0(VALU_DEP_2) | instskip(NEXT) | instid1(VALU_DEP_2)
	v_mul_f64_e32 v[0:1], s[6:7], v[4:5]
	v_mul_f64_e32 v[2:3], s[6:7], v[2:3]
	v_add_co_u32 v4, vcc_lo, v8, s2
	s_wait_alu 0xfffd
	v_add_co_ci_u32_e32 v5, vcc_lo, s3, v9, vcc_lo
	global_store_b128 v[4:5], v[0:3], off
.LBB0_23:
	s_nop 0
	s_sendmsg sendmsg(MSG_DEALLOC_VGPRS)
	s_endpgm
	.section	.rodata,"a",@progbits
	.p2align	6, 0x0
	.amdhsa_kernel bluestein_single_back_len1650_dim1_dp_op_CI_CI
		.amdhsa_group_segment_fixed_size 26400
		.amdhsa_private_segment_fixed_size 596
		.amdhsa_kernarg_size 104
		.amdhsa_user_sgpr_count 2
		.amdhsa_user_sgpr_dispatch_ptr 0
		.amdhsa_user_sgpr_queue_ptr 0
		.amdhsa_user_sgpr_kernarg_segment_ptr 1
		.amdhsa_user_sgpr_dispatch_id 0
		.amdhsa_user_sgpr_private_segment_size 0
		.amdhsa_wavefront_size32 1
		.amdhsa_uses_dynamic_stack 0
		.amdhsa_enable_private_segment 1
		.amdhsa_system_sgpr_workgroup_id_x 1
		.amdhsa_system_sgpr_workgroup_id_y 0
		.amdhsa_system_sgpr_workgroup_id_z 0
		.amdhsa_system_sgpr_workgroup_info 0
		.amdhsa_system_vgpr_workitem_id 0
		.amdhsa_next_free_vgpr 256
		.amdhsa_next_free_sgpr 40
		.amdhsa_reserve_vcc 1
		.amdhsa_float_round_mode_32 0
		.amdhsa_float_round_mode_16_64 0
		.amdhsa_float_denorm_mode_32 3
		.amdhsa_float_denorm_mode_16_64 3
		.amdhsa_fp16_overflow 0
		.amdhsa_workgroup_processor_mode 1
		.amdhsa_memory_ordered 1
		.amdhsa_forward_progress 0
		.amdhsa_round_robin_scheduling 0
		.amdhsa_exception_fp_ieee_invalid_op 0
		.amdhsa_exception_fp_denorm_src 0
		.amdhsa_exception_fp_ieee_div_zero 0
		.amdhsa_exception_fp_ieee_overflow 0
		.amdhsa_exception_fp_ieee_underflow 0
		.amdhsa_exception_fp_ieee_inexact 0
		.amdhsa_exception_int_div_zero 0
	.end_amdhsa_kernel
	.text
.Lfunc_end0:
	.size	bluestein_single_back_len1650_dim1_dp_op_CI_CI, .Lfunc_end0-bluestein_single_back_len1650_dim1_dp_op_CI_CI
                                        ; -- End function
	.section	.AMDGPU.csdata,"",@progbits
; Kernel info:
; codeLenInByte = 29664
; NumSgprs: 42
; NumVgprs: 256
; ScratchSize: 596
; MemoryBound: 0
; FloatMode: 240
; IeeeMode: 1
; LDSByteSize: 26400 bytes/workgroup (compile time only)
; SGPRBlocks: 5
; VGPRBlocks: 31
; NumSGPRsForWavesPerEU: 42
; NumVGPRsForWavesPerEU: 256
; Occupancy: 4
; WaveLimiterHint : 1
; COMPUTE_PGM_RSRC2:SCRATCH_EN: 1
; COMPUTE_PGM_RSRC2:USER_SGPR: 2
; COMPUTE_PGM_RSRC2:TRAP_HANDLER: 0
; COMPUTE_PGM_RSRC2:TGID_X_EN: 1
; COMPUTE_PGM_RSRC2:TGID_Y_EN: 0
; COMPUTE_PGM_RSRC2:TGID_Z_EN: 0
; COMPUTE_PGM_RSRC2:TIDIG_COMP_CNT: 0
	.text
	.p2alignl 7, 3214868480
	.fill 96, 4, 3214868480
	.type	__hip_cuid_aca18232c97e3c87,@object ; @__hip_cuid_aca18232c97e3c87
	.section	.bss,"aw",@nobits
	.globl	__hip_cuid_aca18232c97e3c87
__hip_cuid_aca18232c97e3c87:
	.byte	0                               ; 0x0
	.size	__hip_cuid_aca18232c97e3c87, 1

	.ident	"AMD clang version 19.0.0git (https://github.com/RadeonOpenCompute/llvm-project roc-6.4.0 25133 c7fe45cf4b819c5991fe208aaa96edf142730f1d)"
	.section	".note.GNU-stack","",@progbits
	.addrsig
	.addrsig_sym __hip_cuid_aca18232c97e3c87
	.amdgpu_metadata
---
amdhsa.kernels:
  - .args:
      - .actual_access:  read_only
        .address_space:  global
        .offset:         0
        .size:           8
        .value_kind:     global_buffer
      - .actual_access:  read_only
        .address_space:  global
        .offset:         8
        .size:           8
        .value_kind:     global_buffer
      - .actual_access:  read_only
        .address_space:  global
        .offset:         16
        .size:           8
        .value_kind:     global_buffer
      - .actual_access:  read_only
        .address_space:  global
        .offset:         24
        .size:           8
        .value_kind:     global_buffer
      - .actual_access:  read_only
        .address_space:  global
        .offset:         32
        .size:           8
        .value_kind:     global_buffer
      - .offset:         40
        .size:           8
        .value_kind:     by_value
      - .address_space:  global
        .offset:         48
        .size:           8
        .value_kind:     global_buffer
      - .address_space:  global
        .offset:         56
        .size:           8
        .value_kind:     global_buffer
      - .address_space:  global
        .offset:         64
        .size:           8
        .value_kind:     global_buffer
      - .address_space:  global
        .offset:         72
        .size:           8
        .value_kind:     global_buffer
      - .offset:         80
        .size:           4
        .value_kind:     by_value
      - .address_space:  global
        .offset:         88
        .size:           8
        .value_kind:     global_buffer
      - .address_space:  global
        .offset:         96
        .size:           8
        .value_kind:     global_buffer
    .group_segment_fixed_size: 26400
    .kernarg_segment_align: 8
    .kernarg_segment_size: 104
    .language:       OpenCL C
    .language_version:
      - 2
      - 0
    .max_flat_workgroup_size: 110
    .name:           bluestein_single_back_len1650_dim1_dp_op_CI_CI
    .private_segment_fixed_size: 596
    .sgpr_count:     42
    .sgpr_spill_count: 0
    .symbol:         bluestein_single_back_len1650_dim1_dp_op_CI_CI.kd
    .uniform_work_group_size: 1
    .uses_dynamic_stack: false
    .vgpr_count:     256
    .vgpr_spill_count: 172
    .wavefront_size: 32
    .workgroup_processor_mode: 1
amdhsa.target:   amdgcn-amd-amdhsa--gfx1201
amdhsa.version:
  - 1
  - 2
...

	.end_amdgpu_metadata
